;; amdgpu-corpus repo=ROCm/rocFFT kind=compiled arch=gfx1100 opt=O3
	.text
	.amdgcn_target "amdgcn-amd-amdhsa--gfx1100"
	.amdhsa_code_object_version 6
	.protected	fft_rtc_fwd_len816_factors_17_2_3_2_2_2_wgs_51_tpt_51_halfLds_dp_op_CI_CI_unitstride_sbrr_C2R_dirReg ; -- Begin function fft_rtc_fwd_len816_factors_17_2_3_2_2_2_wgs_51_tpt_51_halfLds_dp_op_CI_CI_unitstride_sbrr_C2R_dirReg
	.globl	fft_rtc_fwd_len816_factors_17_2_3_2_2_2_wgs_51_tpt_51_halfLds_dp_op_CI_CI_unitstride_sbrr_C2R_dirReg
	.p2align	8
	.type	fft_rtc_fwd_len816_factors_17_2_3_2_2_2_wgs_51_tpt_51_halfLds_dp_op_CI_CI_unitstride_sbrr_C2R_dirReg,@function
fft_rtc_fwd_len816_factors_17_2_3_2_2_2_wgs_51_tpt_51_halfLds_dp_op_CI_CI_unitstride_sbrr_C2R_dirReg: ; @fft_rtc_fwd_len816_factors_17_2_3_2_2_2_wgs_51_tpt_51_halfLds_dp_op_CI_CI_unitstride_sbrr_C2R_dirReg
; %bb.0:
	s_clause 0x2
	s_load_b128 s[8:11], s[0:1], 0x0
	s_load_b128 s[4:7], s[0:1], 0x58
	;; [unrolled: 1-line block ×3, first 2 shown]
	v_mul_u32_u24_e32 v1, 0x506, v0
	v_mov_b32_e32 v3, 0
	s_delay_alu instid0(VALU_DEP_2) | instskip(NEXT) | instid1(VALU_DEP_1)
	v_lshrrev_b32_e32 v1, 16, v1
	v_add_nc_u32_e32 v5, s15, v1
	v_mov_b32_e32 v1, 0
	v_mov_b32_e32 v2, 0
	;; [unrolled: 1-line block ×3, first 2 shown]
	s_waitcnt lgkmcnt(0)
	v_cmp_lt_u64_e64 s2, s[10:11], 2
	s_delay_alu instid0(VALU_DEP_1)
	s_and_b32 vcc_lo, exec_lo, s2
	s_cbranch_vccnz .LBB0_8
; %bb.1:
	s_load_b64 s[2:3], s[0:1], 0x10
	v_mov_b32_e32 v1, 0
	v_mov_b32_e32 v2, 0
	s_add_u32 s12, s18, 8
	s_addc_u32 s13, s19, 0
	s_add_u32 s14, s16, 8
	s_addc_u32 s15, s17, 0
	v_dual_mov_b32 v73, v2 :: v_dual_mov_b32 v72, v1
	s_mov_b64 s[22:23], 1
	s_waitcnt lgkmcnt(0)
	s_add_u32 s20, s2, 8
	s_addc_u32 s21, s3, 0
.LBB0_2:                                ; =>This Inner Loop Header: Depth=1
	s_load_b64 s[24:25], s[20:21], 0x0
                                        ; implicit-def: $vgpr76_vgpr77
	s_mov_b32 s2, exec_lo
	s_waitcnt lgkmcnt(0)
	v_or_b32_e32 v4, s25, v6
	s_delay_alu instid0(VALU_DEP_1)
	v_cmpx_ne_u64_e32 0, v[3:4]
	s_xor_b32 s3, exec_lo, s2
	s_cbranch_execz .LBB0_4
; %bb.3:                                ;   in Loop: Header=BB0_2 Depth=1
	v_cvt_f32_u32_e32 v4, s24
	v_cvt_f32_u32_e32 v7, s25
	s_sub_u32 s2, 0, s24
	s_subb_u32 s26, 0, s25
	s_delay_alu instid0(VALU_DEP_1) | instskip(NEXT) | instid1(VALU_DEP_1)
	v_fmac_f32_e32 v4, 0x4f800000, v7
	v_rcp_f32_e32 v4, v4
	s_waitcnt_depctr 0xfff
	v_mul_f32_e32 v4, 0x5f7ffffc, v4
	s_delay_alu instid0(VALU_DEP_1) | instskip(NEXT) | instid1(VALU_DEP_1)
	v_mul_f32_e32 v7, 0x2f800000, v4
	v_trunc_f32_e32 v7, v7
	s_delay_alu instid0(VALU_DEP_1) | instskip(SKIP_1) | instid1(VALU_DEP_2)
	v_fmac_f32_e32 v4, 0xcf800000, v7
	v_cvt_u32_f32_e32 v7, v7
	v_cvt_u32_f32_e32 v4, v4
	s_delay_alu instid0(VALU_DEP_2) | instskip(NEXT) | instid1(VALU_DEP_2)
	v_mul_lo_u32 v8, s2, v7
	v_mul_hi_u32 v9, s2, v4
	v_mul_lo_u32 v10, s26, v4
	s_delay_alu instid0(VALU_DEP_2) | instskip(SKIP_1) | instid1(VALU_DEP_2)
	v_add_nc_u32_e32 v8, v9, v8
	v_mul_lo_u32 v9, s2, v4
	v_add_nc_u32_e32 v8, v8, v10
	s_delay_alu instid0(VALU_DEP_2) | instskip(NEXT) | instid1(VALU_DEP_2)
	v_mul_hi_u32 v10, v4, v9
	v_mul_lo_u32 v11, v4, v8
	v_mul_hi_u32 v12, v4, v8
	v_mul_hi_u32 v13, v7, v9
	v_mul_lo_u32 v9, v7, v9
	v_mul_hi_u32 v14, v7, v8
	v_mul_lo_u32 v8, v7, v8
	v_add_co_u32 v10, vcc_lo, v10, v11
	v_add_co_ci_u32_e32 v11, vcc_lo, 0, v12, vcc_lo
	s_delay_alu instid0(VALU_DEP_2) | instskip(NEXT) | instid1(VALU_DEP_2)
	v_add_co_u32 v9, vcc_lo, v10, v9
	v_add_co_ci_u32_e32 v9, vcc_lo, v11, v13, vcc_lo
	v_add_co_ci_u32_e32 v10, vcc_lo, 0, v14, vcc_lo
	s_delay_alu instid0(VALU_DEP_2) | instskip(NEXT) | instid1(VALU_DEP_2)
	v_add_co_u32 v8, vcc_lo, v9, v8
	v_add_co_ci_u32_e32 v9, vcc_lo, 0, v10, vcc_lo
	s_delay_alu instid0(VALU_DEP_2) | instskip(NEXT) | instid1(VALU_DEP_2)
	v_add_co_u32 v4, vcc_lo, v4, v8
	v_add_co_ci_u32_e32 v7, vcc_lo, v7, v9, vcc_lo
	s_delay_alu instid0(VALU_DEP_2) | instskip(SKIP_1) | instid1(VALU_DEP_3)
	v_mul_hi_u32 v8, s2, v4
	v_mul_lo_u32 v10, s26, v4
	v_mul_lo_u32 v9, s2, v7
	s_delay_alu instid0(VALU_DEP_1) | instskip(SKIP_1) | instid1(VALU_DEP_2)
	v_add_nc_u32_e32 v8, v8, v9
	v_mul_lo_u32 v9, s2, v4
	v_add_nc_u32_e32 v8, v8, v10
	s_delay_alu instid0(VALU_DEP_2) | instskip(NEXT) | instid1(VALU_DEP_2)
	v_mul_hi_u32 v10, v4, v9
	v_mul_lo_u32 v11, v4, v8
	v_mul_hi_u32 v12, v4, v8
	v_mul_hi_u32 v13, v7, v9
	v_mul_lo_u32 v9, v7, v9
	v_mul_hi_u32 v14, v7, v8
	v_mul_lo_u32 v8, v7, v8
	v_add_co_u32 v10, vcc_lo, v10, v11
	v_add_co_ci_u32_e32 v11, vcc_lo, 0, v12, vcc_lo
	s_delay_alu instid0(VALU_DEP_2) | instskip(NEXT) | instid1(VALU_DEP_2)
	v_add_co_u32 v9, vcc_lo, v10, v9
	v_add_co_ci_u32_e32 v9, vcc_lo, v11, v13, vcc_lo
	v_add_co_ci_u32_e32 v10, vcc_lo, 0, v14, vcc_lo
	s_delay_alu instid0(VALU_DEP_2) | instskip(NEXT) | instid1(VALU_DEP_2)
	v_add_co_u32 v8, vcc_lo, v9, v8
	v_add_co_ci_u32_e32 v9, vcc_lo, 0, v10, vcc_lo
	s_delay_alu instid0(VALU_DEP_2) | instskip(NEXT) | instid1(VALU_DEP_2)
	v_add_co_u32 v4, vcc_lo, v4, v8
	v_add_co_ci_u32_e32 v13, vcc_lo, v7, v9, vcc_lo
	s_delay_alu instid0(VALU_DEP_2) | instskip(SKIP_1) | instid1(VALU_DEP_3)
	v_mul_hi_u32 v14, v5, v4
	v_mad_u64_u32 v[9:10], null, v6, v4, 0
	v_mad_u64_u32 v[7:8], null, v5, v13, 0
	;; [unrolled: 1-line block ×3, first 2 shown]
	s_delay_alu instid0(VALU_DEP_2) | instskip(NEXT) | instid1(VALU_DEP_3)
	v_add_co_u32 v4, vcc_lo, v14, v7
	v_add_co_ci_u32_e32 v7, vcc_lo, 0, v8, vcc_lo
	s_delay_alu instid0(VALU_DEP_2) | instskip(NEXT) | instid1(VALU_DEP_2)
	v_add_co_u32 v4, vcc_lo, v4, v9
	v_add_co_ci_u32_e32 v4, vcc_lo, v7, v10, vcc_lo
	v_add_co_ci_u32_e32 v7, vcc_lo, 0, v12, vcc_lo
	s_delay_alu instid0(VALU_DEP_2) | instskip(NEXT) | instid1(VALU_DEP_2)
	v_add_co_u32 v4, vcc_lo, v4, v11
	v_add_co_ci_u32_e32 v9, vcc_lo, 0, v7, vcc_lo
	s_delay_alu instid0(VALU_DEP_2) | instskip(SKIP_1) | instid1(VALU_DEP_3)
	v_mul_lo_u32 v10, s25, v4
	v_mad_u64_u32 v[7:8], null, s24, v4, 0
	v_mul_lo_u32 v11, s24, v9
	s_delay_alu instid0(VALU_DEP_2) | instskip(NEXT) | instid1(VALU_DEP_2)
	v_sub_co_u32 v7, vcc_lo, v5, v7
	v_add3_u32 v8, v8, v11, v10
	s_delay_alu instid0(VALU_DEP_1) | instskip(NEXT) | instid1(VALU_DEP_1)
	v_sub_nc_u32_e32 v10, v6, v8
	v_subrev_co_ci_u32_e64 v10, s2, s25, v10, vcc_lo
	v_add_co_u32 v11, s2, v4, 2
	s_delay_alu instid0(VALU_DEP_1) | instskip(SKIP_3) | instid1(VALU_DEP_3)
	v_add_co_ci_u32_e64 v12, s2, 0, v9, s2
	v_sub_co_u32 v13, s2, v7, s24
	v_sub_co_ci_u32_e32 v8, vcc_lo, v6, v8, vcc_lo
	v_subrev_co_ci_u32_e64 v10, s2, 0, v10, s2
	v_cmp_le_u32_e32 vcc_lo, s24, v13
	s_delay_alu instid0(VALU_DEP_3) | instskip(SKIP_1) | instid1(VALU_DEP_4)
	v_cmp_eq_u32_e64 s2, s25, v8
	v_cndmask_b32_e64 v13, 0, -1, vcc_lo
	v_cmp_le_u32_e32 vcc_lo, s25, v10
	v_cndmask_b32_e64 v14, 0, -1, vcc_lo
	v_cmp_le_u32_e32 vcc_lo, s24, v7
	;; [unrolled: 2-line block ×3, first 2 shown]
	v_cndmask_b32_e64 v15, 0, -1, vcc_lo
	v_cmp_eq_u32_e32 vcc_lo, s25, v10
	s_delay_alu instid0(VALU_DEP_2) | instskip(SKIP_3) | instid1(VALU_DEP_3)
	v_cndmask_b32_e64 v7, v15, v7, s2
	v_cndmask_b32_e32 v10, v14, v13, vcc_lo
	v_add_co_u32 v13, vcc_lo, v4, 1
	v_add_co_ci_u32_e32 v14, vcc_lo, 0, v9, vcc_lo
	v_cmp_ne_u32_e32 vcc_lo, 0, v10
	s_delay_alu instid0(VALU_DEP_2) | instskip(NEXT) | instid1(VALU_DEP_4)
	v_cndmask_b32_e32 v8, v14, v12, vcc_lo
	v_cndmask_b32_e32 v10, v13, v11, vcc_lo
	v_cmp_ne_u32_e32 vcc_lo, 0, v7
	s_delay_alu instid0(VALU_DEP_2)
	v_dual_cndmask_b32 v77, v9, v8 :: v_dual_cndmask_b32 v76, v4, v10
.LBB0_4:                                ;   in Loop: Header=BB0_2 Depth=1
	s_and_not1_saveexec_b32 s2, s3
	s_cbranch_execz .LBB0_6
; %bb.5:                                ;   in Loop: Header=BB0_2 Depth=1
	v_cvt_f32_u32_e32 v4, s24
	s_sub_i32 s3, 0, s24
	v_mov_b32_e32 v77, v3
	s_delay_alu instid0(VALU_DEP_2) | instskip(SKIP_2) | instid1(VALU_DEP_1)
	v_rcp_iflag_f32_e32 v4, v4
	s_waitcnt_depctr 0xfff
	v_mul_f32_e32 v4, 0x4f7ffffe, v4
	v_cvt_u32_f32_e32 v4, v4
	s_delay_alu instid0(VALU_DEP_1) | instskip(NEXT) | instid1(VALU_DEP_1)
	v_mul_lo_u32 v7, s3, v4
	v_mul_hi_u32 v7, v4, v7
	s_delay_alu instid0(VALU_DEP_1) | instskip(NEXT) | instid1(VALU_DEP_1)
	v_add_nc_u32_e32 v4, v4, v7
	v_mul_hi_u32 v4, v5, v4
	s_delay_alu instid0(VALU_DEP_1) | instskip(SKIP_1) | instid1(VALU_DEP_2)
	v_mul_lo_u32 v7, v4, s24
	v_add_nc_u32_e32 v8, 1, v4
	v_sub_nc_u32_e32 v7, v5, v7
	s_delay_alu instid0(VALU_DEP_1) | instskip(SKIP_1) | instid1(VALU_DEP_2)
	v_subrev_nc_u32_e32 v9, s24, v7
	v_cmp_le_u32_e32 vcc_lo, s24, v7
	v_dual_cndmask_b32 v7, v7, v9 :: v_dual_cndmask_b32 v4, v4, v8
	s_delay_alu instid0(VALU_DEP_1) | instskip(NEXT) | instid1(VALU_DEP_2)
	v_cmp_le_u32_e32 vcc_lo, s24, v7
	v_add_nc_u32_e32 v8, 1, v4
	s_delay_alu instid0(VALU_DEP_1)
	v_cndmask_b32_e32 v76, v4, v8, vcc_lo
.LBB0_6:                                ;   in Loop: Header=BB0_2 Depth=1
	s_or_b32 exec_lo, exec_lo, s2
	s_delay_alu instid0(VALU_DEP_1) | instskip(NEXT) | instid1(VALU_DEP_2)
	v_mul_lo_u32 v4, v77, s24
	v_mul_lo_u32 v9, v76, s25
	s_load_b64 s[2:3], s[14:15], 0x0
	v_mad_u64_u32 v[7:8], null, v76, s24, 0
	s_load_b64 s[24:25], s[12:13], 0x0
	s_add_u32 s22, s22, 1
	s_addc_u32 s23, s23, 0
	s_add_u32 s12, s12, 8
	s_addc_u32 s13, s13, 0
	s_add_u32 s14, s14, 8
	s_delay_alu instid0(VALU_DEP_1) | instskip(SKIP_3) | instid1(VALU_DEP_2)
	v_add3_u32 v4, v8, v9, v4
	v_sub_co_u32 v8, vcc_lo, v5, v7
	s_addc_u32 s15, s15, 0
	s_add_u32 s20, s20, 8
	v_sub_co_ci_u32_e32 v6, vcc_lo, v6, v4, vcc_lo
	s_addc_u32 s21, s21, 0
	s_waitcnt lgkmcnt(0)
	s_delay_alu instid0(VALU_DEP_1)
	v_mul_lo_u32 v9, s2, v6
	v_mul_lo_u32 v10, s3, v8
	v_mad_u64_u32 v[4:5], null, s2, v8, v[1:2]
	v_mul_lo_u32 v11, s24, v6
	v_mul_lo_u32 v12, s25, v8
	v_mad_u64_u32 v[6:7], null, s24, v8, v[72:73]
	v_cmp_ge_u64_e64 s2, s[22:23], s[10:11]
	v_add3_u32 v2, v10, v5, v9
	s_delay_alu instid0(VALU_DEP_3) | instskip(NEXT) | instid1(VALU_DEP_4)
	v_dual_mov_b32 v1, v4 :: v_dual_mov_b32 v72, v6
	v_add3_u32 v73, v12, v7, v11
	s_delay_alu instid0(VALU_DEP_4)
	s_and_b32 vcc_lo, exec_lo, s2
	s_cbranch_vccnz .LBB0_9
; %bb.7:                                ;   in Loop: Header=BB0_2 Depth=1
	v_dual_mov_b32 v5, v76 :: v_dual_mov_b32 v6, v77
	s_branch .LBB0_2
.LBB0_8:
	v_dual_mov_b32 v73, v2 :: v_dual_mov_b32 v72, v1
	v_dual_mov_b32 v77, v6 :: v_dual_mov_b32 v76, v5
.LBB0_9:
	s_load_b64 s[0:1], s[0:1], 0x28
	v_mul_hi_u32 v3, 0x5050506, v0
	s_lshl_b64 s[10:11], s[10:11], 3
                                        ; implicit-def: $vgpr74
                                        ; implicit-def: $vgpr4_vgpr5
	s_delay_alu instid0(SALU_CYCLE_1) | instskip(SKIP_4) | instid1(VALU_DEP_1)
	s_add_u32 s2, s18, s10
	s_addc_u32 s3, s19, s11
	s_waitcnt lgkmcnt(0)
	v_cmp_gt_u64_e32 vcc_lo, s[0:1], v[76:77]
	v_cmp_le_u64_e64 s0, s[0:1], v[76:77]
	s_and_saveexec_b32 s1, s0
	s_delay_alu instid0(SALU_CYCLE_1)
	s_xor_b32 s0, exec_lo, s1
; %bb.10:
	v_mul_u32_u24_e32 v1, 51, v3
	v_mov_b32_e32 v75, 0
                                        ; implicit-def: $vgpr3
	s_delay_alu instid0(VALU_DEP_2) | instskip(NEXT) | instid1(VALU_DEP_1)
	v_sub_nc_u32_e32 v74, v0, v1
                                        ; implicit-def: $vgpr0
                                        ; implicit-def: $vgpr1_vgpr2
	v_dual_mov_b32 v4, v74 :: v_dual_mov_b32 v5, v75
; %bb.11:
	s_or_saveexec_b32 s1, s0
	s_load_b64 s[2:3], s[2:3], 0x0
	s_xor_b32 exec_lo, exec_lo, s1
	s_cbranch_execz .LBB0_15
; %bb.12:
	s_add_u32 s10, s16, s10
	s_addc_u32 s11, s17, s11
	v_lshlrev_b64 v[1:2], 4, v[1:2]
	s_load_b64 s[10:11], s[10:11], 0x0
	v_mov_b32_e32 v75, 0
	s_waitcnt lgkmcnt(0)
	v_mul_lo_u32 v6, s11, v76
	v_mul_lo_u32 v7, s10, v77
	v_mad_u64_u32 v[4:5], null, s10, v76, 0
	s_delay_alu instid0(VALU_DEP_1) | instskip(SKIP_1) | instid1(VALU_DEP_2)
	v_add3_u32 v5, v5, v7, v6
	v_mul_u32_u24_e32 v6, 51, v3
	v_lshlrev_b64 v[3:4], 4, v[4:5]
	s_delay_alu instid0(VALU_DEP_2) | instskip(NEXT) | instid1(VALU_DEP_1)
	v_sub_nc_u32_e32 v74, v0, v6
	v_lshlrev_b32_e32 v70, 4, v74
	s_delay_alu instid0(VALU_DEP_3) | instskip(NEXT) | instid1(VALU_DEP_1)
	v_add_co_u32 v0, s0, s4, v3
	v_add_co_ci_u32_e64 v3, s0, s5, v4, s0
	s_mov_b32 s4, exec_lo
	s_delay_alu instid0(VALU_DEP_2) | instskip(NEXT) | instid1(VALU_DEP_1)
	v_add_co_u32 v0, s0, v0, v1
	v_add_co_ci_u32_e64 v1, s0, v3, v2, s0
	s_delay_alu instid0(VALU_DEP_2) | instskip(NEXT) | instid1(VALU_DEP_1)
	v_add_co_u32 v2, s0, v0, v70
	v_add_co_ci_u32_e64 v3, s0, 0, v1, s0
	s_clause 0x5
	global_load_b128 v[6:9], v[2:3], off
	global_load_b128 v[10:13], v[2:3], off offset:816
	global_load_b128 v[14:17], v[2:3], off offset:1632
	;; [unrolled: 1-line block ×5, first 2 shown]
	v_add_co_u32 v4, s0, 0x1000, v2
	s_delay_alu instid0(VALU_DEP_1) | instskip(SKIP_1) | instid1(VALU_DEP_1)
	v_add_co_ci_u32_e64 v5, s0, 0, v3, s0
	v_add_co_u32 v2, s0, 0x2000, v2
	v_add_co_ci_u32_e64 v3, s0, 0, v3, s0
	s_clause 0x9
	global_load_b128 v[30:33], v[4:5], off offset:800
	global_load_b128 v[34:37], v[4:5], off offset:1616
	global_load_b128 v[38:41], v[4:5], off offset:2432
	global_load_b128 v[42:45], v[4:5], off offset:3248
	global_load_b128 v[46:49], v[4:5], off offset:4064
	global_load_b128 v[50:53], v[2:3], off offset:784
	global_load_b128 v[54:57], v[2:3], off offset:1600
	global_load_b128 v[58:61], v[2:3], off offset:2416
	global_load_b128 v[62:65], v[2:3], off offset:3232
	global_load_b128 v[66:69], v[2:3], off offset:4048
	v_mov_b32_e32 v4, v74
	v_dual_mov_b32 v5, v75 :: v_dual_add_nc_u32 v2, 0, v70
	s_waitcnt vmcnt(15)
	ds_store_b128 v2, v[6:9]
	s_waitcnt vmcnt(14)
	ds_store_b128 v2, v[10:13] offset:816
	s_waitcnt vmcnt(13)
	ds_store_b128 v2, v[14:17] offset:1632
	s_waitcnt vmcnt(12)
	ds_store_b128 v2, v[18:21] offset:2448
	s_waitcnt vmcnt(11)
	ds_store_b128 v2, v[22:25] offset:3264
	s_waitcnt vmcnt(10)
	ds_store_b128 v2, v[26:29] offset:4080
	s_waitcnt vmcnt(9)
	ds_store_b128 v2, v[30:33] offset:4896
	s_waitcnt vmcnt(8)
	ds_store_b128 v2, v[34:37] offset:5712
	s_waitcnt vmcnt(7)
	ds_store_b128 v2, v[38:41] offset:6528
	s_waitcnt vmcnt(6)
	ds_store_b128 v2, v[42:45] offset:7344
	s_waitcnt vmcnt(5)
	ds_store_b128 v2, v[46:49] offset:8160
	s_waitcnt vmcnt(4)
	ds_store_b128 v2, v[50:53] offset:8976
	s_waitcnt vmcnt(3)
	ds_store_b128 v2, v[54:57] offset:9792
	s_waitcnt vmcnt(2)
	ds_store_b128 v2, v[58:61] offset:10608
	s_waitcnt vmcnt(1)
	ds_store_b128 v2, v[62:65] offset:11424
	s_waitcnt vmcnt(0)
	ds_store_b128 v2, v[66:69] offset:12240
	v_cmpx_eq_u32_e32 50, v74
	s_cbranch_execz .LBB0_14
; %bb.13:
	v_add_co_u32 v0, s0, 0x3000, v0
	s_delay_alu instid0(VALU_DEP_1)
	v_add_co_ci_u32_e64 v1, s0, 0, v1, s0
	v_mov_b32_e32 v4, 50
	v_dual_mov_b32 v5, 0 :: v_dual_mov_b32 v74, 50
	global_load_b128 v[0:3], v[0:1], off offset:768
	s_waitcnt vmcnt(0)
	ds_store_b128 v75, v[0:3] offset:13056
.LBB0_14:
	s_or_b32 exec_lo, exec_lo, s4
.LBB0_15:
	s_delay_alu instid0(SALU_CYCLE_1)
	s_or_b32 exec_lo, exec_lo, s1
	v_lshlrev_b32_e32 v0, 4, v74
	s_waitcnt lgkmcnt(0)
	s_barrier
	buffer_gl0_inv
	v_lshlrev_b64 v[78:79], 4, v[4:5]
	v_add_nc_u32_e32 v178, 0, v0
	v_sub_nc_u32_e32 v10, 0, v0
	s_add_u32 s1, s8, 0x31f0
	s_addc_u32 s4, s9, 0
	s_mov_b32 s5, exec_lo
	ds_load_b64 v[6:7], v178
	ds_load_b64 v[8:9], v10 offset:13056
	s_waitcnt lgkmcnt(0)
	v_add_f64 v[0:1], v[6:7], v[8:9]
	v_add_f64 v[2:3], v[6:7], -v[8:9]
	v_cmpx_ne_u32_e32 0, v74
	s_xor_b32 s5, exec_lo, s5
	s_cbranch_execz .LBB0_17
; %bb.16:
	v_add_co_u32 v0, s0, s1, v78
	s_delay_alu instid0(VALU_DEP_1)
	v_add_co_ci_u32_e64 v1, s0, s4, v79, s0
	v_add_f64 v[13:14], v[6:7], v[8:9]
	v_add_f64 v[8:9], v[6:7], -v[8:9]
	global_load_b128 v[2:5], v[0:1], off
	ds_load_b64 v[0:1], v10 offset:13064
	ds_load_b64 v[11:12], v178 offset:8
	s_waitcnt lgkmcnt(0)
	v_add_f64 v[6:7], v[0:1], v[11:12]
	v_add_f64 v[0:1], v[11:12], -v[0:1]
	s_waitcnt vmcnt(0)
	v_fma_f64 v[11:12], v[8:9], v[4:5], v[13:14]
	v_fma_f64 v[13:14], -v[8:9], v[4:5], v[13:14]
	s_delay_alu instid0(VALU_DEP_3) | instskip(SKIP_1) | instid1(VALU_DEP_4)
	v_fma_f64 v[15:16], v[6:7], v[4:5], -v[0:1]
	v_fma_f64 v[17:18], v[6:7], v[4:5], v[0:1]
	v_fma_f64 v[0:1], -v[6:7], v[2:3], v[11:12]
	s_delay_alu instid0(VALU_DEP_4) | instskip(NEXT) | instid1(VALU_DEP_4)
	v_fma_f64 v[4:5], v[6:7], v[2:3], v[13:14]
	v_fma_f64 v[6:7], v[8:9], v[2:3], v[15:16]
	s_delay_alu instid0(VALU_DEP_4)
	v_fma_f64 v[2:3], v[8:9], v[2:3], v[17:18]
	ds_store_b128 v10, v[4:7] offset:13056
.LBB0_17:
	s_and_not1_saveexec_b32 s0, s5
	s_cbranch_execz .LBB0_19
; %bb.18:
	v_mov_b32_e32 v8, 0
	ds_load_b128 v[4:7], v8 offset:6528
	s_waitcnt lgkmcnt(0)
	v_add_f64 v[4:5], v[4:5], v[4:5]
	v_mul_f64 v[6:7], v[6:7], -2.0
	ds_store_b128 v8, v[4:7] offset:6528
.LBB0_19:
	s_or_b32 exec_lo, exec_lo, s0
	v_mov_b32_e32 v75, 0
	s_mov_b32 s10, 0x370991
	s_mov_b32 s14, 0x2a9d6da3
	;; [unrolled: 1-line block ×4, first 2 shown]
	v_lshlrev_b64 v[80:81], 4, v[74:75]
	s_mov_b32 s16, 0x75d4884
	s_mov_b32 s12, 0x7c9e640b
	s_mov_b32 s17, 0x3fe7a5f6
	s_mov_b32 s13, 0xbfeca52d
	s_mov_b32 s18, 0x2b2883cd
	v_add_co_u32 v23, s0, s1, v80
	s_delay_alu instid0(VALU_DEP_1)
	v_add_co_ci_u32_e64 v24, s0, s4, v81, s0
	s_mov_b32 s4, 0x5d8e7cdc
	s_mov_b32 s5, 0xbfd71e95
	;; [unrolled: 1-line block ×3, first 2 shown]
	s_clause 0x1
	global_load_b128 v[4:7], v[23:24], off offset:816
	global_load_b128 v[11:14], v[23:24], off offset:1632
	ds_store_b128 v178, v[0:3]
	ds_load_b128 v[0:3], v178 offset:816
	ds_load_b128 v[15:18], v10 offset:12240
	global_load_b128 v[19:22], v[23:24], off offset:2448
	s_mov_b32 s19, 0x3fdc86fa
	s_mov_b32 s27, 0xbfefdd0d
	;; [unrolled: 1-line block ×18, first 2 shown]
	s_waitcnt lgkmcnt(0)
	v_add_f64 v[8:9], v[0:1], v[15:16]
	v_add_f64 v[25:26], v[17:18], v[2:3]
	v_add_f64 v[15:16], v[0:1], -v[15:16]
	v_add_f64 v[0:1], v[2:3], -v[17:18]
	s_mov_b32 s38, 0x7faef3
	s_mov_b32 s39, 0xbfef7484
	s_mov_b32 s33, exec_lo
	s_waitcnt vmcnt(2)
	s_delay_alu instid0(VALU_DEP_2) | instskip(NEXT) | instid1(VALU_DEP_2)
	v_fma_f64 v[2:3], v[15:16], v[6:7], v[8:9]
	v_fma_f64 v[17:18], v[25:26], v[6:7], v[0:1]
	v_fma_f64 v[8:9], -v[15:16], v[6:7], v[8:9]
	v_fma_f64 v[27:28], v[25:26], v[6:7], -v[0:1]
	s_delay_alu instid0(VALU_DEP_4) | instskip(NEXT) | instid1(VALU_DEP_4)
	v_fma_f64 v[0:1], -v[25:26], v[4:5], v[2:3]
	v_fma_f64 v[2:3], v[15:16], v[4:5], v[17:18]
	s_delay_alu instid0(VALU_DEP_4) | instskip(NEXT) | instid1(VALU_DEP_4)
	v_fma_f64 v[6:7], v[25:26], v[4:5], v[8:9]
	v_fma_f64 v[8:9], v[15:16], v[4:5], v[27:28]
	ds_store_b128 v178, v[0:3] offset:816
	ds_store_b128 v10, v[6:9] offset:12240
	ds_load_b128 v[0:3], v178 offset:1632
	ds_load_b128 v[4:7], v10 offset:11424
	global_load_b128 v[15:18], v[23:24], off offset:3264
	s_waitcnt lgkmcnt(0)
	v_add_f64 v[8:9], v[0:1], v[4:5]
	v_add_f64 v[25:26], v[6:7], v[2:3]
	v_add_f64 v[27:28], v[0:1], -v[4:5]
	v_add_f64 v[0:1], v[2:3], -v[6:7]
	s_waitcnt vmcnt(2)
	s_delay_alu instid0(VALU_DEP_2) | instskip(NEXT) | instid1(VALU_DEP_2)
	v_fma_f64 v[2:3], v[27:28], v[13:14], v[8:9]
	v_fma_f64 v[4:5], v[25:26], v[13:14], v[0:1]
	v_fma_f64 v[6:7], -v[27:28], v[13:14], v[8:9]
	v_fma_f64 v[8:9], v[25:26], v[13:14], -v[0:1]
	s_delay_alu instid0(VALU_DEP_4) | instskip(NEXT) | instid1(VALU_DEP_4)
	v_fma_f64 v[0:1], -v[25:26], v[11:12], v[2:3]
	v_fma_f64 v[2:3], v[27:28], v[11:12], v[4:5]
	s_delay_alu instid0(VALU_DEP_4) | instskip(NEXT) | instid1(VALU_DEP_4)
	v_fma_f64 v[4:5], v[25:26], v[11:12], v[6:7]
	v_fma_f64 v[6:7], v[27:28], v[11:12], v[8:9]
	ds_store_b128 v178, v[0:3] offset:1632
	ds_store_b128 v10, v[4:7] offset:11424
	ds_load_b128 v[0:3], v178 offset:2448
	ds_load_b128 v[4:7], v10 offset:10608
	global_load_b128 v[11:14], v[23:24], off offset:4080
	s_waitcnt lgkmcnt(0)
	v_add_f64 v[8:9], v[0:1], v[4:5]
	v_add_f64 v[25:26], v[6:7], v[2:3]
	v_add_f64 v[27:28], v[0:1], -v[4:5]
	v_add_f64 v[0:1], v[2:3], -v[6:7]
	s_waitcnt vmcnt(2)
	s_delay_alu instid0(VALU_DEP_2) | instskip(NEXT) | instid1(VALU_DEP_2)
	v_fma_f64 v[2:3], v[27:28], v[21:22], v[8:9]
	v_fma_f64 v[4:5], v[25:26], v[21:22], v[0:1]
	v_fma_f64 v[6:7], -v[27:28], v[21:22], v[8:9]
	v_fma_f64 v[8:9], v[25:26], v[21:22], -v[0:1]
	s_delay_alu instid0(VALU_DEP_4) | instskip(NEXT) | instid1(VALU_DEP_4)
	v_fma_f64 v[0:1], -v[25:26], v[19:20], v[2:3]
	v_fma_f64 v[2:3], v[27:28], v[19:20], v[4:5]
	s_delay_alu instid0(VALU_DEP_4) | instskip(NEXT) | instid1(VALU_DEP_4)
	v_fma_f64 v[4:5], v[25:26], v[19:20], v[6:7]
	v_fma_f64 v[6:7], v[27:28], v[19:20], v[8:9]
	v_add_co_u32 v8, s0, 0x1000, v23
	s_delay_alu instid0(VALU_DEP_1)
	v_add_co_ci_u32_e64 v9, s0, 0, v24, s0
	ds_store_b128 v178, v[0:3] offset:2448
	ds_store_b128 v10, v[4:7] offset:10608
	ds_load_b128 v[0:3], v178 offset:3264
	ds_load_b128 v[4:7], v10 offset:9792
	global_load_b128 v[19:22], v[8:9], off offset:800
	s_waitcnt lgkmcnt(0)
	v_add_f64 v[23:24], v[0:1], v[4:5]
	v_add_f64 v[25:26], v[6:7], v[2:3]
	v_add_f64 v[27:28], v[0:1], -v[4:5]
	v_add_f64 v[0:1], v[2:3], -v[6:7]
	s_waitcnt vmcnt(2)
	s_delay_alu instid0(VALU_DEP_2) | instskip(NEXT) | instid1(VALU_DEP_2)
	v_fma_f64 v[2:3], v[27:28], v[17:18], v[23:24]
	v_fma_f64 v[4:5], v[25:26], v[17:18], v[0:1]
	v_fma_f64 v[6:7], -v[27:28], v[17:18], v[23:24]
	v_fma_f64 v[17:18], v[25:26], v[17:18], -v[0:1]
	s_delay_alu instid0(VALU_DEP_4) | instskip(NEXT) | instid1(VALU_DEP_4)
	v_fma_f64 v[0:1], -v[25:26], v[15:16], v[2:3]
	v_fma_f64 v[2:3], v[27:28], v[15:16], v[4:5]
	s_delay_alu instid0(VALU_DEP_4) | instskip(NEXT) | instid1(VALU_DEP_4)
	v_fma_f64 v[4:5], v[25:26], v[15:16], v[6:7]
	v_fma_f64 v[6:7], v[27:28], v[15:16], v[17:18]
	ds_store_b128 v178, v[0:3] offset:3264
	ds_store_b128 v10, v[4:7] offset:9792
	ds_load_b128 v[0:3], v178 offset:4080
	ds_load_b128 v[4:7], v10 offset:8976
	global_load_b128 v[15:18], v[8:9], off offset:1616
	s_waitcnt lgkmcnt(0)
	v_add_f64 v[8:9], v[0:1], v[4:5]
	v_add_f64 v[23:24], v[6:7], v[2:3]
	v_add_f64 v[25:26], v[0:1], -v[4:5]
	v_add_f64 v[0:1], v[2:3], -v[6:7]
	s_waitcnt vmcnt(2)
	s_delay_alu instid0(VALU_DEP_2) | instskip(NEXT) | instid1(VALU_DEP_2)
	v_fma_f64 v[2:3], v[25:26], v[13:14], v[8:9]
	v_fma_f64 v[4:5], v[23:24], v[13:14], v[0:1]
	v_fma_f64 v[6:7], -v[25:26], v[13:14], v[8:9]
	v_fma_f64 v[8:9], v[23:24], v[13:14], -v[0:1]
	s_delay_alu instid0(VALU_DEP_4) | instskip(NEXT) | instid1(VALU_DEP_4)
	v_fma_f64 v[0:1], -v[23:24], v[11:12], v[2:3]
	v_fma_f64 v[2:3], v[25:26], v[11:12], v[4:5]
	s_delay_alu instid0(VALU_DEP_4) | instskip(NEXT) | instid1(VALU_DEP_4)
	v_fma_f64 v[4:5], v[23:24], v[11:12], v[6:7]
	v_fma_f64 v[6:7], v[25:26], v[11:12], v[8:9]
	ds_store_b128 v178, v[0:3] offset:4080
	ds_store_b128 v10, v[4:7] offset:8976
	ds_load_b128 v[0:3], v178 offset:4896
	ds_load_b128 v[4:7], v10 offset:8160
	s_waitcnt lgkmcnt(0)
	v_add_f64 v[8:9], v[0:1], v[4:5]
	v_add_f64 v[11:12], v[6:7], v[2:3]
	v_add_f64 v[13:14], v[0:1], -v[4:5]
	v_add_f64 v[0:1], v[2:3], -v[6:7]
	s_waitcnt vmcnt(1)
	s_delay_alu instid0(VALU_DEP_2) | instskip(NEXT) | instid1(VALU_DEP_2)
	v_fma_f64 v[2:3], v[13:14], v[21:22], v[8:9]
	v_fma_f64 v[4:5], v[11:12], v[21:22], v[0:1]
	v_fma_f64 v[6:7], -v[13:14], v[21:22], v[8:9]
	v_fma_f64 v[8:9], v[11:12], v[21:22], -v[0:1]
	s_delay_alu instid0(VALU_DEP_4) | instskip(NEXT) | instid1(VALU_DEP_4)
	v_fma_f64 v[0:1], -v[11:12], v[19:20], v[2:3]
	v_fma_f64 v[2:3], v[13:14], v[19:20], v[4:5]
	s_delay_alu instid0(VALU_DEP_4) | instskip(NEXT) | instid1(VALU_DEP_4)
	v_fma_f64 v[4:5], v[11:12], v[19:20], v[6:7]
	v_fma_f64 v[6:7], v[13:14], v[19:20], v[8:9]
	ds_store_b128 v178, v[0:3] offset:4896
	ds_store_b128 v10, v[4:7] offset:8160
	ds_load_b128 v[0:3], v178 offset:5712
	ds_load_b128 v[4:7], v10 offset:7344
	s_waitcnt lgkmcnt(0)
	v_add_f64 v[8:9], v[0:1], v[4:5]
	v_add_f64 v[11:12], v[6:7], v[2:3]
	v_add_f64 v[13:14], v[0:1], -v[4:5]
	v_add_f64 v[0:1], v[2:3], -v[6:7]
	s_waitcnt vmcnt(0)
	s_delay_alu instid0(VALU_DEP_2) | instskip(NEXT) | instid1(VALU_DEP_2)
	v_fma_f64 v[2:3], v[13:14], v[17:18], v[8:9]
	v_fma_f64 v[4:5], v[11:12], v[17:18], v[0:1]
	v_fma_f64 v[6:7], -v[13:14], v[17:18], v[8:9]
	v_fma_f64 v[8:9], v[11:12], v[17:18], -v[0:1]
	s_delay_alu instid0(VALU_DEP_4) | instskip(NEXT) | instid1(VALU_DEP_4)
	v_fma_f64 v[0:1], -v[11:12], v[15:16], v[2:3]
	v_fma_f64 v[2:3], v[13:14], v[15:16], v[4:5]
	s_delay_alu instid0(VALU_DEP_4) | instskip(NEXT) | instid1(VALU_DEP_4)
	v_fma_f64 v[4:5], v[11:12], v[15:16], v[6:7]
	v_fma_f64 v[6:7], v[13:14], v[15:16], v[8:9]
	ds_store_b128 v178, v[0:3] offset:5712
	ds_store_b128 v10, v[4:7] offset:7344
	s_waitcnt lgkmcnt(0)
	s_barrier
	buffer_gl0_inv
	s_barrier
	buffer_gl0_inv
	ds_load_b128 v[8:11], v178 offset:12288
	ds_load_b128 v[32:35], v178 offset:768
	ds_load_b128 v[4:7], v178
	ds_load_b128 v[12:15], v178 offset:11520
	ds_load_b128 v[40:43], v178 offset:1536
	;; [unrolled: 1-line block ×8, first 2 shown]
	s_waitcnt lgkmcnt(9)
	v_add_f64 v[162:163], v[34:35], -v[10:11]
	v_add_f64 v[164:165], v[32:33], -v[8:9]
	v_add_f64 v[158:159], v[32:33], v[8:9]
	v_add_f64 v[170:171], v[34:35], v[10:11]
	s_waitcnt lgkmcnt(6)
	v_add_f64 v[100:101], v[42:43], -v[14:15]
	v_add_f64 v[82:83], v[40:41], -v[12:13]
	v_add_f64 v[84:85], v[40:41], v[12:13]
	v_add_f64 v[106:107], v[42:43], v[14:15]
	;; [unrolled: 5-line block ×5, first 2 shown]
	v_mul_f64 v[160:161], v[162:163], s[4:5]
	v_mul_f64 v[174:175], v[164:165], s[4:5]
	;; [unrolled: 1-line block ×10, first 2 shown]
	v_fma_f64 v[0:1], v[158:159], s[10:11], v[160:161]
	v_fma_f64 v[2:3], v[170:171], s[10:11], -v[174:175]
	v_fma_f64 v[28:29], v[84:85], s[16:17], v[138:139]
	v_fma_f64 v[30:31], v[106:107], s[16:17], -v[140:141]
	;; [unrolled: 2-line block ×5, first 2 shown]
	v_add_f64 v[0:1], v[4:5], v[0:1]
	v_add_f64 v[2:3], v[6:7], v[2:3]
	s_delay_alu instid0(VALU_DEP_2) | instskip(NEXT) | instid1(VALU_DEP_2)
	v_add_f64 v[0:1], v[28:29], v[0:1]
	v_add_f64 v[2:3], v[30:31], v[2:3]
	ds_load_b128 v[28:31], v178 offset:8448
	ds_load_b128 v[56:59], v178 offset:4608
	;; [unrolled: 1-line block ×4, first 2 shown]
	s_waitcnt lgkmcnt(2)
	v_add_f64 v[124:125], v[58:59], -v[30:31]
	v_add_f64 v[98:99], v[56:57], -v[28:29]
	v_add_f64 v[102:103], v[56:57], v[28:29]
	v_add_f64 v[130:131], v[58:59], v[30:31]
	s_waitcnt lgkmcnt(0)
	v_add_f64 v[126:127], v[62:63], -v[38:39]
	v_add_f64 v[108:109], v[60:61], -v[36:37]
	v_add_f64 v[110:111], v[60:61], v[36:37]
	v_add_f64 v[134:135], v[62:63], v[38:39]
	;; [unrolled: 1-line block ×4, first 2 shown]
	v_mul_f64 v[154:155], v[124:125], s[34:35]
	v_mul_f64 v[156:157], v[98:99], s[34:35]
	;; [unrolled: 1-line block ×4, first 2 shown]
	v_add_f64 v[0:1], v[68:69], v[0:1]
	v_add_f64 v[2:3], v[70:71], v[2:3]
	ds_load_b128 v[68:71], v178 offset:6144
	ds_load_b128 v[64:67], v178 offset:6912
	s_waitcnt lgkmcnt(0)
	s_barrier
	buffer_gl0_inv
	v_add_f64 v[132:133], v[70:71], -v[66:67]
	v_add_f64 v[112:113], v[68:69], -v[64:65]
	v_fma_f64 v[179:180], v[102:103], s[30:31], v[154:155]
	v_fma_f64 v[181:182], v[130:131], s[30:31], -v[156:157]
	v_fma_f64 v[183:184], v[110:111], s[36:37], v[166:167]
	v_fma_f64 v[185:186], v[134:135], s[36:37], -v[172:173]
	v_add_f64 v[0:1], v[114:115], v[0:1]
	v_add_f64 v[2:3], v[136:137], v[2:3]
	;; [unrolled: 1-line block ×4, first 2 shown]
	v_mul_f64 v[168:169], v[132:133], s[40:41]
	v_mul_f64 v[176:177], v[112:113], s[40:41]
	v_add_f64 v[0:1], v[179:180], v[0:1]
	v_add_f64 v[2:3], v[181:182], v[2:3]
	s_delay_alu instid0(VALU_DEP_4) | instskip(NEXT) | instid1(VALU_DEP_4)
	v_fma_f64 v[179:180], v[114:115], s[38:39], v[168:169]
	v_fma_f64 v[181:182], v[136:137], s[38:39], -v[176:177]
	s_delay_alu instid0(VALU_DEP_4) | instskip(NEXT) | instid1(VALU_DEP_4)
	v_add_f64 v[0:1], v[183:184], v[0:1]
	v_add_f64 v[2:3], v[185:186], v[2:3]
	s_delay_alu instid0(VALU_DEP_2) | instskip(NEXT) | instid1(VALU_DEP_2)
	v_add_f64 v[0:1], v[179:180], v[0:1]
	v_add_f64 v[2:3], v[181:182], v[2:3]
	v_cmpx_gt_u32_e32 48, v74
	s_cbranch_execz .LBB0_21
; %bb.20:
	v_add_f64 v[32:33], v[4:5], v[32:33]
	v_add_f64 v[34:35], v[6:7], v[34:35]
	s_mov_b32 s1, 0x3fe9895b
	s_mov_b32 s0, s34
	;; [unrolled: 1-line block ×16, first 2 shown]
	v_mul_f64 v[189:190], v[136:137], s[22:23]
	v_mul_f64 v[191:192], v[132:133], s[46:47]
	;; [unrolled: 1-line block ×20, first 2 shown]
	v_add_f64 v[32:33], v[32:33], v[40:41]
	v_add_f64 v[34:35], v[34:35], v[42:43]
	v_mul_f64 v[42:43], v[162:163], s[40:41]
	v_mul_f64 v[40:41], v[170:171], s[10:11]
	;; [unrolled: 1-line block ×15, first 2 shown]
	v_add_f64 v[32:33], v[32:33], v[44:45]
	v_add_f64 v[34:35], v[34:35], v[46:47]
	v_mul_f64 v[44:45], v[162:163], s[28:29]
	v_mul_f64 v[46:47], v[162:163], s[34:35]
	v_add_f64 v[40:41], v[174:175], v[40:41]
	v_add_f64 v[32:33], v[32:33], v[48:49]
	;; [unrolled: 1-line block ×3, first 2 shown]
	v_mul_f64 v[48:49], v[162:163], s[20:21]
	v_mul_f64 v[50:51], v[162:163], s[26:27]
	s_delay_alu instid0(VALU_DEP_4) | instskip(NEXT) | instid1(VALU_DEP_4)
	v_add_f64 v[32:33], v[32:33], v[52:53]
	v_add_f64 v[34:35], v[34:35], v[54:55]
	v_mul_f64 v[52:53], v[162:163], s[12:13]
	v_mul_f64 v[54:55], v[162:163], s[14:15]
	s_delay_alu instid0(VALU_DEP_4) | instskip(NEXT) | instid1(VALU_DEP_4)
	v_add_f64 v[32:33], v[32:33], v[56:57]
	v_add_f64 v[34:35], v[34:35], v[58:59]
	v_fma_f64 v[56:57], v[158:159], s[38:39], v[42:43]
	v_fma_f64 v[42:43], v[158:159], s[38:39], -v[42:43]
	v_fma_f64 v[58:59], v[158:159], s[36:37], v[44:45]
	v_fma_f64 v[44:45], v[158:159], s[36:37], -v[44:45]
	v_add_f64 v[32:33], v[32:33], v[60:61]
	v_add_f64 v[34:35], v[34:35], v[62:63]
	v_fma_f64 v[60:61], v[158:159], s[30:31], v[46:47]
	v_fma_f64 v[46:47], v[158:159], s[30:31], -v[46:47]
	v_fma_f64 v[62:63], v[158:159], s[24:25], v[48:49]
	v_fma_f64 v[48:49], v[158:159], s[24:25], -v[48:49]
	v_add_f64 v[56:57], v[4:5], v[56:57]
	v_add_f64 v[42:43], v[4:5], v[42:43]
	;; [unrolled: 1-line block ×6, first 2 shown]
	v_mul_f64 v[70:71], v[158:159], s[10:11]
	v_fma_f64 v[68:69], v[158:159], s[16:17], v[54:55]
	v_fma_f64 v[54:55], v[158:159], s[16:17], -v[54:55]
	v_add_f64 v[60:61], v[4:5], v[60:61]
	v_add_f64 v[62:63], v[4:5], v[62:63]
	;; [unrolled: 1-line block ×5, first 2 shown]
	v_fma_f64 v[64:65], v[158:159], s[22:23], v[50:51]
	v_fma_f64 v[50:51], v[158:159], s[22:23], -v[50:51]
	v_fma_f64 v[66:67], v[158:159], s[18:19], v[52:53]
	v_fma_f64 v[52:53], v[158:159], s[18:19], -v[52:53]
	v_add_f64 v[70:71], v[70:71], -v[160:161]
	v_add_f64 v[32:33], v[32:33], v[36:37]
	v_add_f64 v[34:35], v[34:35], v[38:39]
	v_mul_f64 v[36:37], v[170:171], s[16:17]
	v_add_f64 v[64:65], v[4:5], v[64:65]
	v_add_f64 v[50:51], v[4:5], v[50:51]
	;; [unrolled: 1-line block ×6, first 2 shown]
	v_mul_f64 v[32:33], v[170:171], s[18:19]
	v_fma_f64 v[38:39], v[164:165], s[52:53], v[36:37]
	v_fma_f64 v[36:37], v[164:165], s[14:15], v[36:37]
	v_add_f64 v[24:25], v[28:29], v[24:25]
	v_add_f64 v[26:27], v[30:31], v[26:27]
	v_mul_f64 v[28:29], v[170:171], s[22:23]
	v_fma_f64 v[34:35], v[164:165], s[48:49], v[32:33]
	v_fma_f64 v[32:33], v[164:165], s[12:13], v[32:33]
	v_add_f64 v[20:21], v[24:25], v[20:21]
	v_add_f64 v[22:23], v[26:27], v[22:23]
	;; [unrolled: 5-line block ×3, first 2 shown]
	v_add_f64 v[185:186], v[6:7], v[32:33]
	v_add_f64 v[32:33], v[6:7], v[36:37]
	;; [unrolled: 1-line block ×4, first 2 shown]
	v_mul_f64 v[20:21], v[170:171], s[30:31]
	v_fma_f64 v[26:27], v[164:165], s[54:55], v[24:25]
	v_fma_f64 v[24:25], v[164:165], s[20:21], v[24:25]
	v_add_f64 v[179:180], v[6:7], v[30:31]
	v_add_f64 v[30:31], v[4:5], v[70:71]
	;; [unrolled: 1-line block ×6, first 2 shown]
	v_mul_f64 v[16:17], v[170:171], s[36:37]
	v_fma_f64 v[22:23], v[164:165], s[0:1], v[20:21]
	v_fma_f64 v[20:21], v[164:165], s[34:35], v[20:21]
	v_add_f64 v[174:175], v[6:7], v[26:27]
	v_add_f64 v[8:9], v[12:13], v[8:9]
	v_mul_f64 v[12:13], v[170:171], s[38:39]
	v_add_f64 v[10:11], v[14:15], v[10:11]
	v_fma_f64 v[18:19], v[164:165], s[44:45], v[16:17]
	v_fma_f64 v[16:17], v[164:165], s[28:29], v[16:17]
	v_add_f64 v[162:163], v[6:7], v[22:23]
	v_add_f64 v[170:171], v[4:5], v[46:47]
	v_mul_f64 v[22:23], v[120:121], s[36:37]
	v_add_f64 v[46:47], v[6:7], v[24:25]
	v_fma_f64 v[14:15], v[164:165], s[42:43], v[12:13]
	v_fma_f64 v[12:13], v[164:165], s[40:41], v[12:13]
	v_add_f64 v[164:165], v[6:7], v[20:21]
	v_mul_f64 v[20:21], v[106:107], s[10:11]
	v_add_f64 v[160:161], v[6:7], v[16:17]
	v_add_f64 v[16:17], v[4:5], v[68:69]
	v_fma_f64 v[24:25], v[86:87], s[44:45], v[22:23]
	v_add_f64 v[158:159], v[6:7], v[18:19]
	v_add_f64 v[18:19], v[6:7], v[38:39]
	v_add_f64 v[14:15], v[6:7], v[14:15]
	v_add_f64 v[12:13], v[6:7], v[12:13]
	v_fma_f64 v[4:5], v[82:83], s[4:5], v[20:21]
	v_fma_f64 v[20:21], v[82:83], s[50:51], v[20:21]
	s_delay_alu instid0(VALU_DEP_2) | instskip(SKIP_1) | instid1(VALU_DEP_3)
	v_add_f64 v[4:5], v[4:5], v[14:15]
	v_mul_f64 v[14:15], v[100:101], s[50:51]
	v_add_f64 v[12:13], v[20:21], v[12:13]
	v_fma_f64 v[20:21], v[86:87], s[28:29], v[22:23]
	v_fma_f64 v[22:23], v[114:115], s[22:23], -v[191:192]
	v_add_f64 v[4:5], v[24:25], v[4:5]
	v_fma_f64 v[6:7], v[84:85], s[10:11], v[14:15]
	v_mul_f64 v[24:25], v[104:105], s[28:29]
	v_fma_f64 v[14:15], v[84:85], s[10:11], -v[14:15]
	v_add_f64 v[12:13], v[20:21], v[12:13]
	s_delay_alu instid0(VALU_DEP_4) | instskip(NEXT) | instid1(VALU_DEP_4)
	v_add_f64 v[6:7], v[6:7], v[56:57]
	v_fma_f64 v[26:27], v[88:89], s[36:37], v[24:25]
	s_delay_alu instid0(VALU_DEP_4) | instskip(SKIP_2) | instid1(VALU_DEP_4)
	v_add_f64 v[14:15], v[14:15], v[42:43]
	v_fma_f64 v[20:21], v[88:89], s[36:37], -v[24:25]
	v_mul_f64 v[24:25], v[106:107], s[18:19]
	v_add_f64 v[6:7], v[26:27], v[6:7]
	v_mul_f64 v[26:27], v[122:123], s[16:17]
	s_delay_alu instid0(VALU_DEP_4) | instskip(NEXT) | instid1(VALU_DEP_2)
	v_add_f64 v[14:15], v[20:21], v[14:15]
	v_fma_f64 v[36:37], v[90:91], s[14:15], v[26:27]
	v_fma_f64 v[20:21], v[90:91], s[52:53], v[26:27]
	v_mul_f64 v[26:27], v[100:101], s[48:49]
	s_delay_alu instid0(VALU_DEP_3) | instskip(SKIP_1) | instid1(VALU_DEP_4)
	v_add_f64 v[4:5], v[36:37], v[4:5]
	v_mul_f64 v[36:37], v[116:117], s[52:53]
	v_add_f64 v[12:13], v[20:21], v[12:13]
	s_delay_alu instid0(VALU_DEP_2) | instskip(SKIP_2) | instid1(VALU_DEP_3)
	v_fma_f64 v[38:39], v[92:93], s[16:17], v[36:37]
	v_fma_f64 v[20:21], v[92:93], s[16:17], -v[36:37]
	v_mul_f64 v[36:37], v[120:121], s[22:23]
	v_add_f64 v[6:7], v[38:39], v[6:7]
	v_mul_f64 v[38:39], v[128:129], s[30:31]
	s_delay_alu instid0(VALU_DEP_4) | instskip(NEXT) | instid1(VALU_DEP_2)
	v_add_f64 v[14:15], v[20:21], v[14:15]
	v_fma_f64 v[40:41], v[94:95], s[0:1], v[38:39]
	v_fma_f64 v[20:21], v[94:95], s[34:35], v[38:39]
	;; [unrolled: 1-line block ×4, first 2 shown]
	s_delay_alu instid0(VALU_DEP_4) | instskip(SKIP_2) | instid1(VALU_DEP_2)
	v_add_f64 v[4:5], v[40:41], v[4:5]
	v_mul_f64 v[40:41], v[118:119], s[34:35]
	v_add_f64 v[12:13], v[20:21], v[12:13]
	v_fma_f64 v[54:55], v[96:97], s[30:31], v[40:41]
	v_fma_f64 v[20:21], v[96:97], s[30:31], -v[40:41]
	s_delay_alu instid0(VALU_DEP_2) | instskip(SKIP_1) | instid1(VALU_DEP_3)
	v_add_f64 v[6:7], v[54:55], v[6:7]
	v_mul_f64 v[54:55], v[130:131], s[18:19]
	v_add_f64 v[14:15], v[20:21], v[14:15]
	s_delay_alu instid0(VALU_DEP_2) | instskip(SKIP_1) | instid1(VALU_DEP_2)
	v_fma_f64 v[56:57], v[98:99], s[12:13], v[54:55]
	v_fma_f64 v[20:21], v[98:99], s[48:49], v[54:55]
	v_add_f64 v[4:5], v[56:57], v[4:5]
	v_mul_f64 v[56:57], v[124:125], s[48:49]
	s_delay_alu instid0(VALU_DEP_3) | instskip(NEXT) | instid1(VALU_DEP_2)
	v_add_f64 v[12:13], v[20:21], v[12:13]
	v_fma_f64 v[68:69], v[102:103], s[18:19], v[56:57]
	v_fma_f64 v[20:21], v[102:103], s[18:19], -v[56:57]
	s_delay_alu instid0(VALU_DEP_2) | instskip(SKIP_1) | instid1(VALU_DEP_3)
	v_add_f64 v[6:7], v[68:69], v[6:7]
	v_mul_f64 v[68:69], v[134:135], s[24:25]
	v_add_f64 v[14:15], v[20:21], v[14:15]
	s_delay_alu instid0(VALU_DEP_2) | instskip(SKIP_1) | instid1(VALU_DEP_2)
	v_fma_f64 v[70:71], v[108:109], s[54:55], v[68:69]
	v_fma_f64 v[20:21], v[108:109], s[20:21], v[68:69]
	v_add_f64 v[4:5], v[70:71], v[4:5]
	v_mul_f64 v[70:71], v[126:127], s[20:21]
	s_delay_alu instid0(VALU_DEP_3) | instskip(NEXT) | instid1(VALU_DEP_2)
	v_add_f64 v[12:13], v[20:21], v[12:13]
	v_fma_f64 v[20:21], v[110:111], s[24:25], -v[70:71]
	v_fma_f64 v[187:188], v[110:111], s[24:25], v[70:71]
	s_delay_alu instid0(VALU_DEP_2) | instskip(SKIP_1) | instid1(VALU_DEP_3)
	v_add_f64 v[20:21], v[20:21], v[14:15]
	v_fma_f64 v[14:15], v[112:113], s[46:47], v[189:190]
	v_add_f64 v[187:188], v[187:188], v[6:7]
	v_fma_f64 v[6:7], v[112:113], s[26:27], v[189:190]
	v_mul_f64 v[189:190], v[136:137], s[24:25]
	s_delay_alu instid0(VALU_DEP_4)
	v_add_f64 v[14:15], v[14:15], v[12:13]
	v_add_f64 v[12:13], v[22:23], v[20:21]
	v_fma_f64 v[20:21], v[82:83], s[12:13], v[24:25]
	v_fma_f64 v[22:23], v[84:85], s[18:19], v[26:27]
	;; [unrolled: 1-line block ×3, first 2 shown]
	v_fma_f64 v[26:27], v[84:85], s[18:19], -v[26:27]
	v_add_f64 v[6:7], v[6:7], v[4:5]
	v_fma_f64 v[4:5], v[114:115], s[22:23], v[191:192]
	v_mul_f64 v[191:192], v[132:133], s[20:21]
	v_add_f64 v[20:21], v[20:21], v[158:159]
	v_add_f64 v[22:23], v[22:23], v[58:59]
	;; [unrolled: 1-line block ×4, first 2 shown]
	v_mul_f64 v[44:45], v[88:89], s[18:19]
	v_add_f64 v[4:5], v[4:5], v[187:188]
	v_mul_f64 v[160:161], v[132:133], s[50:51]
	v_mul_f64 v[132:133], v[132:133], s[48:49]
	v_add_f64 v[20:21], v[38:39], v[20:21]
	v_mul_f64 v[38:39], v[104:105], s[26:27]
	v_add_f64 v[24:25], v[36:37], v[24:25]
	v_add_f64 v[44:45], v[44:45], -v[142:143]
	v_mul_f64 v[142:143], v[122:123], s[38:39]
	s_delay_alu instid0(VALU_DEP_4) | instskip(SKIP_2) | instid1(VALU_DEP_3)
	v_fma_f64 v[40:41], v[88:89], s[22:23], v[38:39]
	v_fma_f64 v[36:37], v[88:89], s[22:23], -v[38:39]
	v_fma_f64 v[38:39], v[114:115], s[24:25], -v[191:192]
	v_add_f64 v[22:23], v[40:41], v[22:23]
	v_mul_f64 v[40:41], v[122:123], s[30:31]
	s_delay_alu instid0(VALU_DEP_4) | instskip(NEXT) | instid1(VALU_DEP_2)
	v_add_f64 v[26:27], v[36:37], v[26:27]
	v_fma_f64 v[42:43], v[90:91], s[34:35], v[40:41]
	v_fma_f64 v[36:37], v[90:91], s[0:1], v[40:41]
	v_mul_f64 v[40:41], v[106:107], s[16:17]
	s_delay_alu instid0(VALU_DEP_3) | instskip(SKIP_1) | instid1(VALU_DEP_4)
	v_add_f64 v[20:21], v[42:43], v[20:21]
	v_mul_f64 v[42:43], v[116:117], s[0:1]
	v_add_f64 v[24:25], v[36:37], v[24:25]
	s_delay_alu instid0(VALU_DEP_4) | instskip(SKIP_1) | instid1(VALU_DEP_4)
	v_add_f64 v[40:41], v[140:141], v[40:41]
	v_mul_f64 v[140:141], v[104:105], s[34:35]
	v_fma_f64 v[54:55], v[92:93], s[30:31], v[42:43]
	v_fma_f64 v[36:37], v[92:93], s[30:31], -v[42:43]
	v_mul_f64 v[42:43], v[92:93], s[22:23]
	v_add_f64 v[28:29], v[40:41], v[28:29]
	v_mul_f64 v[40:41], v[102:103], s[30:31]
	v_add_f64 v[22:23], v[54:55], v[22:23]
	;; [unrolled: 2-line block ×3, first 2 shown]
	v_add_f64 v[42:43], v[42:43], -v[146:147]
	v_add_f64 v[40:41], v[40:41], -v[154:155]
	v_mul_f64 v[146:147], v[128:129], s[36:37]
	v_mul_f64 v[154:155], v[134:135], s[18:19]
	v_fma_f64 v[56:57], v[94:95], s[50:51], v[54:55]
	v_fma_f64 v[36:37], v[94:95], s[4:5], v[54:55]
	v_mul_f64 v[54:55], v[84:85], s[16:17]
	s_delay_alu instid0(VALU_DEP_3) | instskip(SKIP_1) | instid1(VALU_DEP_4)
	v_add_f64 v[20:21], v[56:57], v[20:21]
	v_mul_f64 v[56:57], v[118:119], s[4:5]
	v_add_f64 v[24:25], v[36:37], v[24:25]
	s_delay_alu instid0(VALU_DEP_4) | instskip(SKIP_1) | instid1(VALU_DEP_4)
	v_add_f64 v[54:55], v[54:55], -v[138:139]
	v_mul_f64 v[138:139], v[120:121], s[30:31]
	v_fma_f64 v[58:59], v[96:97], s[10:11], v[56:57]
	v_fma_f64 v[36:37], v[96:97], s[10:11], -v[56:57]
	s_delay_alu instid0(VALU_DEP_4)
	v_add_f64 v[30:31], v[54:55], v[30:31]
	v_mul_f64 v[56:57], v[128:129], s[24:25]
	v_mul_f64 v[54:55], v[100:101], s[54:55]
	v_add_f64 v[22:23], v[58:59], v[22:23]
	v_mul_f64 v[58:59], v[130:131], s[38:39]
	v_add_f64 v[26:27], v[36:37], v[26:27]
	v_add_f64 v[30:31], v[44:45], v[30:31]
	;; [unrolled: 1-line block ×3, first 2 shown]
	v_mul_f64 v[152:153], v[124:125], s[54:55]
	v_fma_f64 v[44:45], v[86:87], s[54:55], v[207:208]
	v_fma_f64 v[68:69], v[98:99], s[42:43], v[58:59]
	;; [unrolled: 1-line block ×3, first 2 shown]
	v_mul_f64 v[58:59], v[96:97], s[24:25]
	v_add_f64 v[30:31], v[42:43], v[30:31]
	v_mul_f64 v[42:43], v[136:137], s[38:39]
	v_add_f64 v[20:21], v[68:69], v[20:21]
	;; [unrolled: 2-line block ×3, first 2 shown]
	v_add_f64 v[58:59], v[58:59], -v[150:151]
	v_add_f64 v[42:43], v[176:177], v[42:43]
	v_mul_f64 v[150:151], v[130:131], s[24:25]
	v_mul_f64 v[176:177], v[104:105], s[42:43]
	;; [unrolled: 1-line block ×4, first 2 shown]
	v_fma_f64 v[70:71], v[102:103], s[38:39], v[68:69]
	v_fma_f64 v[36:37], v[102:103], s[38:39], -v[68:69]
	v_mul_f64 v[68:69], v[130:131], s[30:31]
	v_add_f64 v[30:31], v[58:59], v[30:31]
	v_mul_f64 v[58:59], v[100:101], s[44:45]
	v_add_f64 v[22:23], v[70:71], v[22:23]
	;; [unrolled: 2-line block ×3, first 2 shown]
	v_add_f64 v[68:69], v[156:157], v[68:69]
	v_add_f64 v[30:31], v[40:41], v[30:31]
	v_mul_f64 v[40:41], v[114:115], s[38:39]
	v_mul_f64 v[156:157], v[126:127], s[48:49]
	v_fma_f64 v[158:159], v[108:109], s[14:15], v[70:71]
	v_fma_f64 v[36:37], v[108:109], s[52:53], v[70:71]
	v_mul_f64 v[70:71], v[100:101], s[26:27]
	v_add_f64 v[40:41], v[40:41], -v[168:169]
	v_mul_f64 v[168:169], v[100:101], s[34:35]
	v_add_f64 v[20:21], v[158:159], v[20:21]
	v_mul_f64 v[158:159], v[126:127], s[52:53]
	v_add_f64 v[24:25], v[36:37], v[24:25]
	v_mul_f64 v[126:127], v[126:127], s[40:41]
	s_delay_alu instid0(VALU_DEP_3) | instskip(SKIP_2) | instid1(VALU_DEP_3)
	v_fma_f64 v[36:37], v[110:111], s[16:17], -v[158:159]
	v_fma_f64 v[187:188], v[110:111], s[16:17], v[158:159]
	v_mul_f64 v[158:159], v[136:137], s[10:11]
	v_add_f64 v[36:37], v[36:37], v[26:27]
	v_fma_f64 v[26:27], v[112:113], s[20:21], v[189:190]
	s_delay_alu instid0(VALU_DEP_4) | instskip(SKIP_2) | instid1(VALU_DEP_4)
	v_add_f64 v[187:188], v[187:188], v[22:23]
	v_fma_f64 v[22:23], v[112:113], s[54:55], v[189:190]
	v_mul_f64 v[189:190], v[128:129], s[16:17]
	v_add_f64 v[26:27], v[26:27], v[24:25]
	v_add_f64 v[24:25], v[38:39], v[36:37]
	v_mul_f64 v[38:39], v[120:121], s[18:19]
	v_mul_f64 v[36:37], v[122:123], s[22:23]
	v_add_f64 v[22:23], v[22:23], v[20:21]
	v_fma_f64 v[20:21], v[114:115], s[24:25], v[191:192]
	v_mul_f64 v[191:192], v[118:119], s[52:53]
	v_add_f64 v[38:39], v[144:145], v[38:39]
	v_add_f64 v[36:37], v[148:149], v[36:37]
	v_mul_f64 v[144:145], v[116:117], s[40:41]
	v_mul_f64 v[148:149], v[118:119], s[44:45]
	v_add_f64 v[20:21], v[20:21], v[187:188]
	v_mul_f64 v[187:188], v[116:117], s[54:55]
	v_mul_f64 v[116:117], v[116:117], s[28:29]
	v_mul_f64 v[118:119], v[118:119], s[46:47]
	v_add_f64 v[28:29], v[38:39], v[28:29]
	v_mul_f64 v[38:39], v[134:135], s[36:37]
	s_delay_alu instid0(VALU_DEP_2) | instskip(SKIP_1) | instid1(VALU_DEP_3)
	v_add_f64 v[28:29], v[36:37], v[28:29]
	v_mul_f64 v[36:37], v[110:111], s[36:37]
	v_add_f64 v[38:39], v[172:173], v[38:39]
	v_mul_f64 v[172:173], v[120:121], s[38:39]
	s_delay_alu instid0(VALU_DEP_4) | instskip(NEXT) | instid1(VALU_DEP_4)
	v_add_f64 v[28:29], v[56:57], v[28:29]
	v_add_f64 v[36:37], v[36:37], -v[166:167]
	v_mul_f64 v[166:167], v[106:107], s[30:31]
	v_mul_f64 v[56:57], v[106:107], s[36:37]
	s_delay_alu instid0(VALU_DEP_4) | instskip(NEXT) | instid1(VALU_DEP_4)
	v_add_f64 v[28:29], v[68:69], v[28:29]
	v_add_f64 v[36:37], v[36:37], v[30:31]
	v_mul_f64 v[68:69], v[106:107], s[22:23]
	s_delay_alu instid0(VALU_DEP_3) | instskip(SKIP_1) | instid1(VALU_DEP_2)
	v_add_f64 v[28:29], v[38:39], v[28:29]
	v_fma_f64 v[38:39], v[84:85], s[30:31], -v[168:169]
	v_add_f64 v[30:31], v[42:43], v[28:29]
	v_add_f64 v[28:29], v[40:41], v[36:37]
	v_fma_f64 v[36:37], v[82:83], s[26:27], v[68:69]
	v_fma_f64 v[40:41], v[86:87], s[42:43], v[172:173]
	v_add_f64 v[38:39], v[38:39], v[52:53]
	v_mul_f64 v[52:53], v[106:107], s[24:25]
	v_fma_f64 v[68:69], v[82:83], s[46:47], v[68:69]
	v_add_f64 v[32:33], v[36:37], v[32:33]
	v_fma_f64 v[36:37], v[84:85], s[22:23], -v[70:71]
	v_fma_f64 v[70:71], v[84:85], s[22:23], v[70:71]
	s_delay_alu instid0(VALU_DEP_4) | instskip(SKIP_1) | instid1(VALU_DEP_4)
	v_add_f64 v[18:19], v[68:69], v[18:19]
	v_fma_f64 v[68:69], v[88:89], s[30:31], v[140:141]
	v_add_f64 v[34:35], v[36:37], v[34:35]
	v_fma_f64 v[36:37], v[86:87], s[34:35], v[138:139]
	;; [unrolled: 2-line block ×3, first 2 shown]
	s_delay_alu instid0(VALU_DEP_3) | instskip(SKIP_1) | instid1(VALU_DEP_4)
	v_add_f64 v[32:33], v[36:37], v[32:33]
	v_fma_f64 v[36:37], v[88:89], s[30:31], -v[140:141]
	v_add_f64 v[16:17], v[68:69], v[16:17]
	v_fma_f64 v[68:69], v[94:95], s[28:29], v[146:147]
	s_delay_alu instid0(VALU_DEP_3) | instskip(SKIP_1) | instid1(VALU_DEP_1)
	v_add_f64 v[34:35], v[36:37], v[34:35]
	v_fma_f64 v[36:37], v[90:91], s[40:41], v[142:143]
	v_add_f64 v[32:33], v[36:37], v[32:33]
	v_fma_f64 v[36:37], v[92:93], s[38:39], -v[144:145]
	s_delay_alu instid0(VALU_DEP_1) | instskip(SKIP_1) | instid1(VALU_DEP_1)
	v_add_f64 v[34:35], v[36:37], v[34:35]
	v_fma_f64 v[36:37], v[94:95], s[44:45], v[146:147]
	v_add_f64 v[32:33], v[36:37], v[32:33]
	v_fma_f64 v[36:37], v[96:97], s[36:37], -v[148:149]
	s_delay_alu instid0(VALU_DEP_1) | instskip(SKIP_1) | instid1(VALU_DEP_1)
	;; [unrolled: 5-line block ×5, first 2 shown]
	v_add_f64 v[32:33], v[32:33], v[36:37]
	v_fma_f64 v[36:37], v[82:83], s[34:35], v[166:167]
	v_add_f64 v[36:37], v[36:37], v[185:186]
	v_mul_f64 v[185:186], v[122:123], s[24:25]
	s_delay_alu instid0(VALU_DEP_2) | instskip(SKIP_1) | instid1(VALU_DEP_1)
	v_add_f64 v[36:37], v[40:41], v[36:37]
	v_fma_f64 v[40:41], v[88:89], s[38:39], -v[176:177]
	v_add_f64 v[38:39], v[40:41], v[38:39]
	s_delay_alu instid0(VALU_DEP_4) | instskip(NEXT) | instid1(VALU_DEP_1)
	v_fma_f64 v[40:41], v[90:91], s[54:55], v[185:186]
	v_add_f64 v[36:37], v[40:41], v[36:37]
	v_fma_f64 v[40:41], v[92:93], s[24:25], -v[187:188]
	s_delay_alu instid0(VALU_DEP_1) | instskip(SKIP_1) | instid1(VALU_DEP_1)
	v_add_f64 v[38:39], v[40:41], v[38:39]
	v_fma_f64 v[40:41], v[94:95], s[52:53], v[189:190]
	v_add_f64 v[36:37], v[40:41], v[36:37]
	v_fma_f64 v[40:41], v[96:97], s[16:17], -v[191:192]
	s_delay_alu instid0(VALU_DEP_1) | instskip(SKIP_1) | instid1(VALU_DEP_1)
	v_add_f64 v[38:39], v[40:41], v[38:39]
	;; [unrolled: 5-line block ×5, first 2 shown]
	v_fma_f64 v[40:41], v[82:83], s[40:41], v[205:206]
	v_add_f64 v[40:41], v[40:41], v[181:182]
	v_mul_f64 v[181:182], v[100:101], s[40:41]
	v_mul_f64 v[100:101], v[120:121], s[10:11]
	s_delay_alu instid0(VALU_DEP_3) | instskip(NEXT) | instid1(VALU_DEP_3)
	v_add_f64 v[40:41], v[44:45], v[40:41]
	v_fma_f64 v[42:43], v[84:85], s[38:39], -v[181:182]
	v_fma_f64 v[44:45], v[88:89], s[24:25], -v[209:210]
	s_delay_alu instid0(VALU_DEP_4) | instskip(NEXT) | instid1(VALU_DEP_3)
	v_fma_f64 v[106:107], v[86:87], s[4:5], v[100:101]
	v_add_f64 v[42:43], v[42:43], v[50:51]
	v_fma_f64 v[50:51], v[84:85], s[24:25], -v[54:55]
	v_fma_f64 v[54:55], v[84:85], s[24:25], v[54:55]
	s_delay_alu instid0(VALU_DEP_3) | instskip(SKIP_1) | instid1(VALU_DEP_4)
	v_add_f64 v[42:43], v[44:45], v[42:43]
	v_fma_f64 v[44:45], v[90:91], s[50:51], v[211:212]
	v_add_f64 v[50:51], v[50:51], v[170:171]
	s_delay_alu instid0(VALU_DEP_4) | instskip(SKIP_4) | instid1(VALU_DEP_1)
	v_add_f64 v[54:55], v[54:55], v[60:61]
	v_fma_f64 v[60:61], v[86:87], s[50:51], v[100:101]
	v_fma_f64 v[100:101], v[114:115], s[18:19], v[132:133]
	v_add_f64 v[40:41], v[44:45], v[40:41]
	v_fma_f64 v[44:45], v[92:93], s[10:11], -v[213:214]
	v_add_f64 v[42:43], v[44:45], v[42:43]
	v_fma_f64 v[44:45], v[94:95], s[12:13], v[215:216]
	s_delay_alu instid0(VALU_DEP_1) | instskip(SKIP_1) | instid1(VALU_DEP_1)
	v_add_f64 v[40:41], v[44:45], v[40:41]
	v_fma_f64 v[44:45], v[96:97], s[18:19], -v[217:218]
	v_add_f64 v[42:43], v[44:45], v[42:43]
	v_fma_f64 v[44:45], v[98:99], s[28:29], v[219:220]
	s_delay_alu instid0(VALU_DEP_1) | instskip(SKIP_1) | instid1(VALU_DEP_1)
	;; [unrolled: 5-line block ×4, first 2 shown]
	v_add_f64 v[42:43], v[42:43], v[40:41]
	v_fma_f64 v[40:41], v[114:115], s[16:17], -v[229:230]
	v_add_f64 v[40:41], v[40:41], v[44:45]
	v_fma_f64 v[44:45], v[82:83], s[44:45], v[56:57]
	v_fma_f64 v[56:57], v[82:83], s[28:29], v[56:57]
	s_delay_alu instid0(VALU_DEP_2) | instskip(SKIP_1) | instid1(VALU_DEP_3)
	v_add_f64 v[44:45], v[44:45], v[46:47]
	v_fma_f64 v[46:47], v[84:85], s[36:37], -v[58:59]
	v_add_f64 v[56:57], v[56:57], v[174:175]
	v_fma_f64 v[58:59], v[84:85], s[36:37], v[58:59]
	s_delay_alu instid0(VALU_DEP_3) | instskip(SKIP_1) | instid1(VALU_DEP_3)
	v_add_f64 v[46:47], v[46:47], v[48:49]
	v_fma_f64 v[48:49], v[86:87], s[52:53], v[231:232]
	v_add_f64 v[58:59], v[58:59], v[62:63]
	v_fma_f64 v[62:63], v[114:115], s[30:31], v[253:254]
	s_delay_alu instid0(VALU_DEP_3) | instskip(SKIP_1) | instid1(VALU_DEP_1)
	v_add_f64 v[44:45], v[48:49], v[44:45]
	v_fma_f64 v[48:49], v[88:89], s[16:17], -v[233:234]
	v_add_f64 v[46:47], v[48:49], v[46:47]
	v_fma_f64 v[48:49], v[90:91], s[12:13], v[235:236]
	s_delay_alu instid0(VALU_DEP_1) | instskip(SKIP_1) | instid1(VALU_DEP_1)
	v_add_f64 v[44:45], v[48:49], v[44:45]
	v_fma_f64 v[48:49], v[92:93], s[18:19], -v[237:238]
	v_add_f64 v[46:47], v[48:49], v[46:47]
	v_fma_f64 v[48:49], v[94:95], s[40:41], v[239:240]
	s_delay_alu instid0(VALU_DEP_1) | instskip(SKIP_1) | instid1(VALU_DEP_1)
	;; [unrolled: 5-line block ×5, first 2 shown]
	v_add_f64 v[46:47], v[46:47], v[44:45]
	v_fma_f64 v[44:45], v[114:115], s[30:31], -v[253:254]
	v_add_f64 v[44:45], v[44:45], v[48:49]
	v_fma_f64 v[48:49], v[82:83], s[54:55], v[52:53]
	v_fma_f64 v[52:53], v[82:83], s[20:21], v[52:53]
	s_delay_alu instid0(VALU_DEP_2) | instskip(NEXT) | instid1(VALU_DEP_2)
	v_add_f64 v[48:49], v[48:49], v[164:165]
	v_add_f64 v[52:53], v[52:53], v[162:163]
	s_delay_alu instid0(VALU_DEP_2) | instskip(SKIP_1) | instid1(VALU_DEP_3)
	v_add_f64 v[48:49], v[106:107], v[48:49]
	v_fma_f64 v[106:107], v[88:89], s[10:11], -v[104:105]
	v_add_f64 v[52:53], v[60:61], v[52:53]
	v_fma_f64 v[60:61], v[88:89], s[10:11], v[104:105]
	v_fma_f64 v[104:105], v[114:115], s[36:37], v[203:204]
	s_delay_alu instid0(VALU_DEP_4) | instskip(SKIP_1) | instid1(VALU_DEP_4)
	v_add_f64 v[50:51], v[106:107], v[50:51]
	v_mul_f64 v[106:107], v[122:123], s[36:37]
	v_add_f64 v[54:55], v[60:61], v[54:55]
	s_delay_alu instid0(VALU_DEP_2) | instskip(SKIP_1) | instid1(VALU_DEP_2)
	v_fma_f64 v[120:121], v[90:91], s[28:29], v[106:107]
	v_fma_f64 v[60:61], v[90:91], s[44:45], v[106:107]
	v_add_f64 v[48:49], v[120:121], v[48:49]
	v_fma_f64 v[120:121], v[92:93], s[36:37], -v[116:117]
	s_delay_alu instid0(VALU_DEP_3) | instskip(SKIP_1) | instid1(VALU_DEP_3)
	v_add_f64 v[52:53], v[60:61], v[52:53]
	v_fma_f64 v[60:61], v[92:93], s[36:37], v[116:117]
	v_add_f64 v[50:51], v[120:121], v[50:51]
	v_mul_f64 v[120:121], v[128:129], s[22:23]
	s_delay_alu instid0(VALU_DEP_3) | instskip(NEXT) | instid1(VALU_DEP_2)
	v_add_f64 v[54:55], v[60:61], v[54:55]
	v_fma_f64 v[122:123], v[94:95], s[46:47], v[120:121]
	v_fma_f64 v[60:61], v[94:95], s[26:27], v[120:121]
	s_delay_alu instid0(VALU_DEP_2) | instskip(SKIP_1) | instid1(VALU_DEP_3)
	v_add_f64 v[48:49], v[122:123], v[48:49]
	v_fma_f64 v[122:123], v[96:97], s[22:23], -v[118:119]
	v_add_f64 v[52:53], v[60:61], v[52:53]
	v_fma_f64 v[60:61], v[96:97], s[22:23], v[118:119]
	s_delay_alu instid0(VALU_DEP_3) | instskip(SKIP_1) | instid1(VALU_DEP_3)
	v_add_f64 v[50:51], v[122:123], v[50:51]
	v_mul_f64 v[122:123], v[130:131], s[16:17]
	v_add_f64 v[54:55], v[60:61], v[54:55]
	s_delay_alu instid0(VALU_DEP_2) | instskip(SKIP_1) | instid1(VALU_DEP_2)
	v_fma_f64 v[128:129], v[98:99], s[14:15], v[122:123]
	v_fma_f64 v[60:61], v[98:99], s[52:53], v[122:123]
	v_add_f64 v[48:49], v[128:129], v[48:49]
	v_fma_f64 v[128:129], v[102:103], s[16:17], -v[124:125]
	s_delay_alu instid0(VALU_DEP_3) | instskip(SKIP_1) | instid1(VALU_DEP_3)
	v_add_f64 v[52:53], v[60:61], v[52:53]
	v_fma_f64 v[60:61], v[102:103], s[16:17], v[124:125]
	v_add_f64 v[50:51], v[128:129], v[50:51]
	v_mul_f64 v[128:129], v[134:135], s[38:39]
	s_delay_alu instid0(VALU_DEP_3) | instskip(SKIP_1) | instid1(VALU_DEP_3)
	v_add_f64 v[54:55], v[60:61], v[54:55]
	v_mul_f64 v[134:135], v[136:137], s[18:19]
	v_fma_f64 v[60:61], v[108:109], s[42:43], v[128:129]
	v_fma_f64 v[130:131], v[108:109], s[40:41], v[128:129]
	s_delay_alu instid0(VALU_DEP_2) | instskip(SKIP_1) | instid1(VALU_DEP_3)
	v_add_f64 v[52:53], v[60:61], v[52:53]
	v_fma_f64 v[60:61], v[110:111], s[38:39], v[126:127]
	v_add_f64 v[48:49], v[130:131], v[48:49]
	v_fma_f64 v[130:131], v[110:111], s[38:39], -v[126:127]
	s_delay_alu instid0(VALU_DEP_3) | instskip(SKIP_1) | instid1(VALU_DEP_3)
	v_add_f64 v[60:61], v[60:61], v[54:55]
	v_fma_f64 v[54:55], v[112:113], s[12:13], v[134:135]
	v_add_f64 v[130:131], v[130:131], v[50:51]
	v_fma_f64 v[50:51], v[112:113], s[48:49], v[134:135]
	s_delay_alu instid0(VALU_DEP_3)
	v_add_f64 v[54:55], v[54:55], v[52:53]
	v_add_f64 v[52:53], v[100:101], v[60:61]
	v_fma_f64 v[60:61], v[86:87], s[14:15], v[231:232]
	v_fma_f64 v[100:101], v[114:115], s[16:17], v[229:230]
	v_add_f64 v[50:51], v[50:51], v[48:49]
	v_fma_f64 v[48:49], v[114:115], s[18:19], -v[132:133]
	s_delay_alu instid0(VALU_DEP_4) | instskip(SKIP_1) | instid1(VALU_DEP_3)
	v_add_f64 v[56:57], v[60:61], v[56:57]
	v_fma_f64 v[60:61], v[88:89], s[16:17], v[233:234]
	v_add_f64 v[48:49], v[48:49], v[130:131]
	s_delay_alu instid0(VALU_DEP_2) | instskip(SKIP_1) | instid1(VALU_DEP_1)
	v_add_f64 v[58:59], v[60:61], v[58:59]
	v_fma_f64 v[60:61], v[90:91], s[48:49], v[235:236]
	v_add_f64 v[56:57], v[60:61], v[56:57]
	v_fma_f64 v[60:61], v[92:93], s[18:19], v[237:238]
	s_delay_alu instid0(VALU_DEP_1) | instskip(SKIP_1) | instid1(VALU_DEP_1)
	v_add_f64 v[58:59], v[60:61], v[58:59]
	v_fma_f64 v[60:61], v[94:95], s[42:43], v[239:240]
	v_add_f64 v[56:57], v[60:61], v[56:57]
	v_fma_f64 v[60:61], v[96:97], s[38:39], v[241:242]
	s_delay_alu instid0(VALU_DEP_1) | instskip(SKIP_1) | instid1(VALU_DEP_1)
	;; [unrolled: 5-line block ×4, first 2 shown]
	v_add_f64 v[60:61], v[60:61], v[58:59]
	v_fma_f64 v[58:59], v[112:113], s[0:1], v[251:252]
	v_add_f64 v[58:59], v[58:59], v[56:57]
	s_delay_alu instid0(VALU_DEP_3) | instskip(SKIP_2) | instid1(VALU_DEP_2)
	v_add_f64 v[56:57], v[62:63], v[60:61]
	v_fma_f64 v[60:61], v[82:83], s[42:43], v[205:206]
	v_fma_f64 v[62:63], v[84:85], s[38:39], v[181:182]
	v_add_f64 v[60:61], v[60:61], v[179:180]
	s_delay_alu instid0(VALU_DEP_2) | instskip(SKIP_1) | instid1(VALU_DEP_1)
	v_add_f64 v[62:63], v[62:63], v[64:65]
	v_fma_f64 v[64:65], v[86:87], s[20:21], v[207:208]
	v_add_f64 v[60:61], v[64:65], v[60:61]
	v_fma_f64 v[64:65], v[88:89], s[24:25], v[209:210]
	s_delay_alu instid0(VALU_DEP_1) | instskip(SKIP_1) | instid1(VALU_DEP_1)
	v_add_f64 v[62:63], v[64:65], v[62:63]
	v_fma_f64 v[64:65], v[90:91], s[4:5], v[211:212]
	v_add_f64 v[60:61], v[64:65], v[60:61]
	v_fma_f64 v[64:65], v[92:93], s[10:11], v[213:214]
	s_delay_alu instid0(VALU_DEP_1) | instskip(SKIP_1) | instid1(VALU_DEP_1)
	;; [unrolled: 5-line block ×5, first 2 shown]
	v_add_f64 v[64:65], v[64:65], v[62:63]
	v_fma_f64 v[62:63], v[112:113], s[14:15], v[227:228]
	v_add_f64 v[62:63], v[62:63], v[60:61]
	s_delay_alu instid0(VALU_DEP_3) | instskip(SKIP_3) | instid1(VALU_DEP_3)
	v_add_f64 v[60:61], v[100:101], v[64:65]
	v_fma_f64 v[64:65], v[82:83], s[0:1], v[166:167]
	v_fma_f64 v[100:101], v[84:85], s[30:31], v[168:169]
	;; [unrolled: 1-line block ×3, first 2 shown]
	v_add_f64 v[64:65], v[64:65], v[183:184]
	s_delay_alu instid0(VALU_DEP_3) | instskip(SKIP_1) | instid1(VALU_DEP_4)
	v_add_f64 v[66:67], v[100:101], v[66:67]
	v_fma_f64 v[100:101], v[86:87], s[40:41], v[172:173]
	v_add_f64 v[18:19], v[82:83], v[18:19]
	v_fma_f64 v[82:83], v[92:93], s[38:39], v[144:145]
	s_delay_alu instid0(VALU_DEP_3) | instskip(SKIP_1) | instid1(VALU_DEP_4)
	v_add_f64 v[64:65], v[100:101], v[64:65]
	v_fma_f64 v[100:101], v[88:89], s[38:39], v[176:177]
	v_add_f64 v[18:19], v[70:71], v[18:19]
	v_fma_f64 v[70:71], v[96:97], s[36:37], v[148:149]
	;; [unrolled: 2-line block ×11, first 2 shown]
	v_add_f64 v[16:17], v[82:83], v[16:17]
	s_delay_alu instid0(VALU_DEP_4) | instskip(SKIP_2) | instid1(VALU_DEP_4)
	v_add_f64 v[64:65], v[100:101], v[64:65]
	v_fma_f64 v[100:101], v[96:97], s[16:17], v[191:192]
	v_add_f64 v[18:19], v[68:69], v[18:19]
	v_add_f64 v[16:17], v[70:71], v[16:17]
	v_lshl_add_u32 v68, v74, 8, v178
	s_delay_alu instid0(VALU_DEP_4) | instskip(SKIP_1) | instid1(VALU_DEP_1)
	v_add_f64 v[66:67], v[100:101], v[66:67]
	v_fma_f64 v[100:101], v[98:99], s[50:51], v[193:194]
	v_add_f64 v[64:65], v[100:101], v[64:65]
	v_fma_f64 v[100:101], v[102:103], s[10:11], v[195:196]
	s_delay_alu instid0(VALU_DEP_1) | instskip(SKIP_1) | instid1(VALU_DEP_1)
	v_add_f64 v[66:67], v[100:101], v[66:67]
	v_fma_f64 v[100:101], v[108:109], s[46:47], v[197:198]
	v_add_f64 v[64:65], v[100:101], v[64:65]
	v_fma_f64 v[100:101], v[110:111], s[22:23], v[199:200]
	s_delay_alu instid0(VALU_DEP_1) | instskip(SKIP_1) | instid1(VALU_DEP_1)
	v_add_f64 v[100:101], v[100:101], v[66:67]
	v_fma_f64 v[66:67], v[112:113], s[44:45], v[201:202]
	v_add_f64 v[66:67], v[66:67], v[64:65]
	s_delay_alu instid0(VALU_DEP_3)
	v_add_f64 v[64:65], v[104:105], v[100:101]
	ds_store_b128 v68, v[8:11]
	ds_store_b128 v68, v[28:31] offset:16
	ds_store_b128 v68, v[32:35] offset:32
	;; [unrolled: 1-line block ×16, first 2 shown]
.LBB0_21:
	s_or_b32 exec_lo, exec_lo, s33
	v_add_nc_u16 v90, v74, 0x66
	v_add_nc_u16 v91, v74, 51
	v_and_b32_e32 v4, 0xff, v74
	v_add_nc_u16 v92, v74, 0x99
	v_add_nc_u16 v84, v74, 0xcc
	v_and_b32_e32 v6, 0xff, v90
	v_and_b32_e32 v5, 0xff, v91
	v_add_nc_u32_e32 v82, 0xff, v74
	v_mul_lo_u16 v4, 0xf1, v4
	v_add_nc_u32_e32 v75, 0x132, v74
	v_mul_lo_u16 v93, 0xf1, v6
	v_and_b32_e32 v6, 0xff, v92
	v_mul_lo_u16 v94, 0xf1, v5
	v_and_b32_e32 v85, 0xff, v84
	v_add_nc_u32_e32 v83, 0x165, v74
	v_lshrrev_b16 v121, 12, v4
	v_and_b32_e32 v87, 0xffff, v82
	v_mul_lo_u16 v96, 0xf1, v6
	v_lshrrev_b16 v122, 12, v94
	v_and_b32_e32 v86, 0xffff, v75
	v_mul_lo_u16 v95, 0xf1, v85
	;; [unrolled: 3-line block ×3, first 2 shown]
	v_lshrrev_b16 v126, 12, v96
	v_mul_u32_u24_e32 v89, 0xf0f1, v87
	v_mul_lo_u16 v5, v122, 17
	v_lshrrev_b16 v128, 12, v95
	v_mul_u32_u24_e32 v12, 0xf0f1, v86
	v_mul_lo_u16 v7, v123, 17
	v_mul_u32_u24_e32 v13, 0xf0f1, v88
	v_sub_nc_u16 v4, v74, v4
	v_mul_lo_u16 v14, v126, 17
	v_lshrrev_b32_e32 v129, 20, v89
	v_sub_nc_u16 v5, v91, v5
	v_mul_lo_u16 v15, v128, 17
	v_lshrrev_b32_e32 v130, 20, v12
	v_sub_nc_u16 v7, v90, v7
	v_lshrrev_b32_e32 v131, 20, v13
	v_and_b32_e32 v4, 0xff, v4
	v_sub_nc_u16 v12, v92, v14
	v_mul_lo_u16 v13, v129, 17
	v_and_b32_e32 v5, 0xff, v5
	v_sub_nc_u16 v14, v84, v15
	v_mul_lo_u16 v15, v130, 17
	v_and_b32_e32 v6, 0xff, v7
	v_mul_lo_u16 v16, v131, 17
	v_lshlrev_b32_e32 v124, 4, v4
	v_and_b32_e32 v12, 0xff, v12
	v_sub_nc_u16 v13, v82, v13
	v_lshlrev_b32_e32 v125, 4, v5
	v_and_b32_e32 v14, 0xff, v14
	v_sub_nc_u16 v15, v75, v15
	v_lshlrev_b32_e32 v127, 4, v6
	v_sub_nc_u16 v16, v83, v16
	s_waitcnt lgkmcnt(0)
	s_barrier
	buffer_gl0_inv
	s_clause 0x1
	global_load_b128 v[4:7], v124, s[8:9]
	global_load_b128 v[8:11], v125, s[8:9]
	v_lshlrev_b32_e32 v132, 4, v12
	v_and_b32_e32 v17, 0xffff, v13
	v_lshlrev_b32_e32 v133, 4, v14
	v_and_b32_e32 v20, 0xffff, v15
	v_and_b32_e32 v24, 0xffff, v16
	global_load_b128 v[12:15], v127, s[8:9]
	v_lshlrev_b32_e32 v134, 4, v17
	global_load_b128 v[16:19], v132, s[8:9]
	v_lshlrev_b32_e32 v135, 4, v20
	global_load_b128 v[20:23], v133, s[8:9]
	v_lshlrev_b32_e32 v136, 4, v24
	s_clause 0x2
	global_load_b128 v[24:27], v134, s[8:9]
	global_load_b128 v[28:31], v135, s[8:9]
	;; [unrolled: 1-line block ×3, first 2 shown]
	ds_load_b128 v[36:39], v178 offset:6528
	ds_load_b128 v[40:43], v178 offset:7344
	ds_load_b128 v[44:47], v178 offset:8160
	ds_load_b128 v[48:51], v178 offset:8976
	ds_load_b128 v[52:55], v178 offset:9792
	ds_load_b128 v[56:59], v178 offset:10608
	ds_load_b128 v[60:63], v178 offset:11424
	ds_load_b128 v[64:67], v178 offset:12240
	v_cmp_gt_u32_e64 s0, 17, v74
	s_waitcnt vmcnt(7) lgkmcnt(7)
	v_mul_f64 v[68:69], v[38:39], v[6:7]
	v_mul_f64 v[6:7], v[36:37], v[6:7]
	s_waitcnt vmcnt(6) lgkmcnt(6)
	v_mul_f64 v[70:71], v[42:43], v[10:11]
	v_mul_f64 v[10:11], v[40:41], v[10:11]
	;; [unrolled: 3-line block ×8, first 2 shown]
	v_fma_f64 v[68:69], v[36:37], v[4:5], -v[68:69]
	v_fma_f64 v[4:5], v[38:39], v[4:5], v[6:7]
	v_fma_f64 v[6:7], v[40:41], v[8:9], -v[70:71]
	v_fma_f64 v[70:71], v[42:43], v[8:9], v[10:11]
	;; [unrolled: 2-line block ×8, first 2 shown]
	ds_load_b128 v[8:11], v178
	ds_load_b128 v[12:15], v178 offset:816
	ds_load_b128 v[16:19], v178 offset:1632
	;; [unrolled: 1-line block ×7, first 2 shown]
	s_waitcnt lgkmcnt(0)
	s_barrier
	buffer_gl0_inv
	v_add_f64 v[40:41], v[8:9], -v[68:69]
	v_add_f64 v[42:43], v[10:11], -v[4:5]
	;; [unrolled: 1-line block ×4, first 2 shown]
	v_and_b32_e32 v68, 0xffff, v121
	v_and_b32_e32 v69, 0xffff, v122
	;; [unrolled: 1-line block ×3, first 2 shown]
	v_add_f64 v[48:49], v[16:17], -v[97:98]
	v_add_f64 v[50:51], v[18:19], -v[109:110]
	;; [unrolled: 1-line block ×12, first 2 shown]
	v_and_b32_e32 v71, 0xffff, v126
	v_mul_u32_u24_e32 v68, 0x220, v68
	v_and_b32_e32 v97, 0xffff, v128
	v_mul_u32_u24_e32 v69, 0x220, v69
	v_mul_u32_u24_e32 v70, 0x220, v70
	;; [unrolled: 1-line block ×7, first 2 shown]
	v_add3_u32 v68, 0, v68, v124
	v_add3_u32 v69, 0, v69, v125
	;; [unrolled: 1-line block ×8, first 2 shown]
	v_fma_f64 v[8:9], v[8:9], 2.0, -v[40:41]
	v_fma_f64 v[10:11], v[10:11], 2.0, -v[42:43]
	;; [unrolled: 1-line block ×16, first 2 shown]
	ds_store_b128 v68, v[8:11]
	ds_store_b128 v68, v[40:43] offset:272
	ds_store_b128 v69, v[12:15]
	ds_store_b128 v69, v[44:47] offset:272
	ds_store_b128 v70, v[16:19]
	ds_store_b128 v70, v[48:51] offset:272
	ds_store_b128 v71, v[20:23]
	ds_store_b128 v71, v[52:55] offset:272
	ds_store_b128 v97, v[24:27]
	ds_store_b128 v97, v[56:59] offset:272
	ds_store_b128 v98, v[28:31]
	ds_store_b128 v98, v[60:63] offset:272
	ds_store_b128 v99, v[32:35]
	ds_store_b128 v99, v[64:67] offset:272
	ds_store_b128 v100, v[36:39]
	ds_store_b128 v100, v[4:7] offset:272
	s_waitcnt lgkmcnt(0)
	s_barrier
	buffer_gl0_inv
	ds_load_b128 v[12:15], v178
	ds_load_b128 v[28:31], v178 offset:816
	ds_load_b128 v[32:35], v178 offset:8704
	ds_load_b128 v[56:59], v178 offset:9520
	ds_load_b128 v[64:67], v178 offset:5168
	ds_load_b128 v[36:39], v178 offset:5984
	ds_load_b128 v[24:27], v178 offset:1632
	ds_load_b128 v[16:19], v178 offset:2448
	ds_load_b128 v[52:55], v178 offset:10336
	ds_load_b128 v[40:43], v178 offset:11152
	ds_load_b128 v[68:71], v178 offset:4352
	ds_load_b128 v[20:23], v178 offset:3264
	ds_load_b128 v[60:63], v178 offset:6800
	ds_load_b128 v[44:47], v178 offset:7616
	ds_load_b128 v[48:51], v178 offset:11968
                                        ; implicit-def: $vgpr10_vgpr11
	s_and_saveexec_b32 s1, s0
	s_cbranch_execz .LBB0_23
; %bb.22:
	ds_load_b128 v[4:7], v178 offset:4080
	ds_load_b128 v[0:3], v178 offset:8432
	;; [unrolled: 1-line block ×3, first 2 shown]
.LBB0_23:
	s_or_b32 exec_lo, exec_lo, s1
	v_lshrrev_b16 v150, 13, v94
	v_subrev_nc_u32_e32 v94, 34, v74
	v_cmp_gt_u32_e64 s1, 34, v74
	v_lshrrev_b16 v151, 13, v93
	v_lshrrev_b16 v153, 13, v96
	v_mul_lo_u16 v93, v150, 34
	v_lshrrev_b16 v154, 13, v95
	v_cndmask_b32_e64 v152, v94, v74, s1
	v_mov_b32_e32 v94, 0
	v_mul_lo_u16 v96, v151, 34
	v_sub_nc_u16 v91, v91, v93
	v_mul_lo_u16 v95, v153, 34
	v_lshlrev_b32_e32 v93, 1, v152
	v_mul_lo_u16 v98, v154, 34
	v_sub_nc_u16 v96, v90, v96
	v_and_b32_e32 v155, 0xff, v91
	v_sub_nc_u16 v99, v92, v95
	v_lshlrev_b64 v[90:91], 4, v[93:94]
	v_sub_nc_u16 v106, v84, v98
	v_and_b32_e32 v156, 0xff, v96
	v_lshlrev_b32_e32 v94, 5, v155
	v_and_b32_e32 v157, 0xff, v99
	s_mov_b32 s4, 0xe8584caa
	v_add_co_u32 v102, s1, s8, v90
	s_delay_alu instid0(VALU_DEP_1)
	v_add_co_ci_u32_e64 v103, s1, s9, v91, s1
	s_clause 0x3
	global_load_b128 v[90:93], v94, s[8:9] offset:288
	global_load_b128 v[94:97], v94, s[8:9] offset:272
	global_load_b128 v[98:101], v[102:103], off offset:272
	global_load_b128 v[102:105], v[102:103], off offset:288
	v_lshlrev_b32_e32 v110, 5, v156
	v_and_b32_e32 v158, 0xff, v106
	v_lshlrev_b32_e32 v118, 5, v157
	s_clause 0x1
	global_load_b128 v[106:109], v110, s[8:9] offset:272
	global_load_b128 v[110:113], v110, s[8:9] offset:288
	v_lshlrev_b32_e32 v126, 5, v158
	s_clause 0x3
	global_load_b128 v[114:117], v118, s[8:9] offset:272
	global_load_b128 v[118:121], v118, s[8:9] offset:288
	;; [unrolled: 1-line block ×4, first 2 shown]
	s_mov_b32 s5, 0x3febb67a
	s_mov_b32 s11, 0xbfebb67a
	;; [unrolled: 1-line block ×3, first 2 shown]
	v_cmp_lt_u32_e64 s1, 33, v74
	s_waitcnt vmcnt(0) lgkmcnt(0)
	s_barrier
	buffer_gl0_inv
	v_mul_f64 v[132:133], v[58:59], v[92:93]
	v_mul_f64 v[130:131], v[66:67], v[96:97]
	;; [unrolled: 1-line block ×20, first 2 shown]
	v_fma_f64 v[56:57], v[56:57], v[90:91], -v[132:133]
	v_fma_f64 v[64:65], v[64:65], v[94:95], -v[130:131]
	v_fma_f64 v[66:67], v[66:67], v[94:95], v[96:97]
	v_fma_f64 v[68:69], v[68:69], v[98:99], -v[134:135]
	v_fma_f64 v[32:33], v[32:33], v[102:103], -v[136:137]
	v_fma_f64 v[70:71], v[70:71], v[98:99], v[100:101]
	v_fma_f64 v[34:35], v[34:35], v[102:103], v[104:105]
	;; [unrolled: 1-line block ×3, first 2 shown]
	v_fma_f64 v[36:37], v[36:37], v[106:107], -v[138:139]
	v_fma_f64 v[52:53], v[52:53], v[110:111], -v[140:141]
	v_fma_f64 v[38:39], v[38:39], v[106:107], v[108:109]
	v_fma_f64 v[54:55], v[54:55], v[110:111], v[112:113]
	v_fma_f64 v[60:61], v[60:61], v[114:115], -v[142:143]
	v_fma_f64 v[40:41], v[40:41], v[118:119], -v[144:145]
	v_fma_f64 v[62:63], v[62:63], v[114:115], v[116:117]
	v_fma_f64 v[42:43], v[42:43], v[118:119], v[120:121]
	;; [unrolled: 4-line block ×3, first 2 shown]
	v_add_f64 v[90:91], v[64:65], v[56:57]
	v_add_f64 v[110:111], v[28:29], v[64:65]
	;; [unrolled: 1-line block ×7, first 2 shown]
	v_add_f64 v[70:71], v[70:71], -v[34:35]
	v_add_f64 v[68:69], v[68:69], -v[32:33]
	v_add_f64 v[98:99], v[36:37], v[52:53]
	v_add_f64 v[112:113], v[66:67], -v[58:59]
	v_add_f64 v[100:101], v[38:39], v[54:55]
	v_add_f64 v[118:119], v[16:17], v[60:61]
	;; [unrolled: 1-line block ×7, first 2 shown]
	v_add_f64 v[64:65], v[64:65], -v[56:57]
	v_add_f64 v[108:109], v[46:47], v[50:51]
	v_add_f64 v[114:115], v[24:25], v[36:37]
	;; [unrolled: 1-line block ×5, first 2 shown]
	v_add_f64 v[130:131], v[38:39], -v[54:55]
	v_add_f64 v[132:133], v[36:37], -v[52:53]
	;; [unrolled: 1-line block ×6, first 2 shown]
	v_fma_f64 v[90:91], v[90:91], -0.5, v[28:29]
	v_add_f64 v[28:29], v[126:127], v[32:33]
	v_fma_f64 v[94:95], v[94:95], -0.5, v[12:13]
	v_add_f64 v[12:13], v[110:111], v[56:57]
	v_fma_f64 v[96:97], v[96:97], -0.5, v[14:15]
	v_fma_f64 v[92:93], v[92:93], -0.5, v[30:31]
	v_add_f64 v[30:31], v[128:129], v[34:35]
	v_fma_f64 v[98:99], v[98:99], -0.5, v[24:25]
	v_fma_f64 v[100:101], v[100:101], -0.5, v[26:27]
	;; [unrolled: 1-line block ×4, first 2 shown]
	v_add_f64 v[14:15], v[66:67], v[58:59]
	v_fma_f64 v[106:107], v[106:107], -0.5, v[20:21]
	v_add_f64 v[20:21], v[118:119], v[40:41]
	v_fma_f64 v[108:109], v[108:109], -0.5, v[22:23]
	v_add_f64 v[22:23], v[120:121], v[42:43]
	v_add_f64 v[16:17], v[114:115], v[52:53]
	;; [unrolled: 1-line block ×5, first 2 shown]
	v_fma_f64 v[32:33], v[112:113], s[4:5], v[90:91]
	v_fma_f64 v[36:37], v[112:113], s[10:11], v[90:91]
	v_and_b32_e32 v91, 0xffff, v150
	v_fma_f64 v[40:41], v[70:71], s[4:5], v[94:95]
	v_fma_f64 v[44:45], v[70:71], s[10:11], v[94:95]
	;; [unrolled: 1-line block ×18, first 2 shown]
	v_cndmask_b32_e64 v90, 0, 0x660, s1
	v_and_b32_e32 v92, 0xffff, v151
	v_and_b32_e32 v93, 0xffff, v153
	;; [unrolled: 1-line block ×3, first 2 shown]
	v_lshlrev_b32_e32 v95, 4, v152
	v_mul_u32_u24_e32 v91, 0x660, v91
	v_lshlrev_b32_e32 v96, 4, v155
	v_mul_u32_u24_e32 v92, 0x660, v92
	v_mul_u32_u24_e32 v93, 0x660, v93
	;; [unrolled: 1-line block ×3, first 2 shown]
	v_lshlrev_b32_e32 v97, 4, v156
	v_lshlrev_b32_e32 v98, 4, v157
	;; [unrolled: 1-line block ×3, first 2 shown]
	v_add3_u32 v90, 0, v90, v95
	v_add3_u32 v91, 0, v91, v96
	;; [unrolled: 1-line block ×5, first 2 shown]
	ds_store_b128 v90, v[28:31]
	ds_store_b128 v90, v[40:43] offset:544
	ds_store_b128 v90, v[44:47] offset:1088
	ds_store_b128 v91, v[12:15]
	ds_store_b128 v91, v[32:35] offset:544
	ds_store_b128 v91, v[36:39] offset:1088
	;; [unrolled: 3-line block ×5, first 2 shown]
	s_and_saveexec_b32 s1, s0
	s_cbranch_execz .LBB0_25
; %bb.24:
	v_lshrrev_b32_e32 v12, 21, v89
	s_delay_alu instid0(VALU_DEP_1) | instskip(NEXT) | instid1(VALU_DEP_1)
	v_mul_lo_u16 v12, v12, 34
	v_sub_nc_u16 v12, v82, v12
	s_delay_alu instid0(VALU_DEP_1) | instskip(NEXT) | instid1(VALU_DEP_1)
	v_and_b32_e32 v24, 0xffff, v12
	v_lshlrev_b32_e32 v16, 5, v24
	s_clause 0x1
	global_load_b128 v[12:15], v16, s[8:9] offset:272
	global_load_b128 v[16:19], v16, s[8:9] offset:288
	s_waitcnt vmcnt(1)
	v_mul_f64 v[20:21], v[0:1], v[14:15]
	s_waitcnt vmcnt(0)
	v_mul_f64 v[22:23], v[8:9], v[18:19]
	v_mul_f64 v[14:15], v[2:3], v[14:15]
	;; [unrolled: 1-line block ×3, first 2 shown]
	s_delay_alu instid0(VALU_DEP_4) | instskip(NEXT) | instid1(VALU_DEP_4)
	v_fma_f64 v[2:3], v[2:3], v[12:13], v[20:21]
	v_fma_f64 v[10:11], v[10:11], v[16:17], v[22:23]
	s_delay_alu instid0(VALU_DEP_4) | instskip(NEXT) | instid1(VALU_DEP_4)
	v_fma_f64 v[0:1], v[0:1], v[12:13], -v[14:15]
	v_fma_f64 v[8:9], v[8:9], v[16:17], -v[18:19]
	s_delay_alu instid0(VALU_DEP_4) | instskip(NEXT) | instid1(VALU_DEP_4)
	v_add_f64 v[18:19], v[6:7], v[2:3]
	v_add_f64 v[12:13], v[2:3], v[10:11]
	v_add_f64 v[20:21], v[2:3], -v[10:11]
	s_delay_alu instid0(VALU_DEP_4)
	v_add_f64 v[14:15], v[0:1], v[8:9]
	v_add_f64 v[16:17], v[0:1], -v[8:9]
	v_add_f64 v[0:1], v[4:5], v[0:1]
	v_add_f64 v[2:3], v[18:19], v[10:11]
	v_fma_f64 v[12:13], v[12:13], -0.5, v[6:7]
	v_fma_f64 v[4:5], v[14:15], -0.5, v[4:5]
	s_delay_alu instid0(VALU_DEP_4) | instskip(NEXT) | instid1(VALU_DEP_3)
	v_add_f64 v[0:1], v[0:1], v[8:9]
	v_fma_f64 v[10:11], v[16:17], s[10:11], v[12:13]
	v_fma_f64 v[6:7], v[16:17], s[4:5], v[12:13]
	s_delay_alu instid0(VALU_DEP_4)
	v_fma_f64 v[8:9], v[20:21], s[4:5], v[4:5]
	v_fma_f64 v[4:5], v[20:21], s[10:11], v[4:5]
	v_lshl_add_u32 v12, v24, 4, 0
	ds_store_b128 v12, v[0:3] offset:11424
	ds_store_b128 v12, v[8:11] offset:11968
	;; [unrolled: 1-line block ×3, first 2 shown]
.LBB0_25:
	s_or_b32 exec_lo, exec_lo, s1
	v_mul_lo_u16 v0, 0xa1, v85
	v_mul_u32_u24_e32 v1, 0xa0a1, v87
	v_mul_u32_u24_e32 v2, 0xa0a1, v86
	;; [unrolled: 1-line block ×3, first 2 shown]
	s_waitcnt lgkmcnt(0)
	v_lshrrev_b16 v0, 14, v0
	v_lshrrev_b32_e32 v1, 22, v1
	v_lshrrev_b32_e32 v4, 22, v2
	v_lshrrev_b32_e32 v5, 22, v3
	v_add_co_u32 v2, s0, s8, v78
	v_mul_lo_u16 v0, 0x66, v0
	v_mul_lo_u16 v1, 0x66, v1
	;; [unrolled: 1-line block ×4, first 2 shown]
	v_add_co_ci_u32_e64 v3, s0, s9, v79, s0
	v_sub_nc_u16 v6, v84, v0
	v_sub_nc_u16 v7, v82, v1
	;; [unrolled: 1-line block ×3, first 2 shown]
	v_add_co_u32 v0, s0, s8, v80
	s_delay_alu instid0(VALU_DEP_4)
	v_and_b32_e32 v12, 0xff, v6
	v_sub_nc_u16 v15, v83, v5
	v_add_co_ci_u32_e64 v1, s0, s9, v81, s0
	v_and_b32_e32 v14, 0xffff, v7
	v_and_b32_e32 v13, 0xffff, v13
	v_lshlrev_b32_e32 v75, 4, v12
	v_and_b32_e32 v16, 0xffff, v15
	s_barrier
	buffer_gl0_inv
	s_clause 0x1
	global_load_b128 v[4:7], v[2:3], off offset:1360
	global_load_b128 v[8:11], v[0:1], off offset:2176
	v_lshlrev_b32_e32 v98, 4, v14
	v_lshlrev_b32_e32 v99, 4, v13
	global_load_b128 v[12:15], v75, s[8:9] offset:1360
	v_lshlrev_b32_e32 v100, 4, v16
	s_clause 0x2
	global_load_b128 v[16:19], v98, s[8:9] offset:1360
	global_load_b128 v[20:23], v99, s[8:9] offset:1360
	;; [unrolled: 1-line block ×3, first 2 shown]
	ds_load_b128 v[28:31], v178 offset:6528
	ds_load_b128 v[32:35], v178 offset:7344
	ds_load_b128 v[36:39], v178 offset:8160
	ds_load_b128 v[40:43], v178 offset:8976
	ds_load_b128 v[44:47], v178 offset:9792
	ds_load_b128 v[48:51], v178 offset:10608
	ds_load_b128 v[52:55], v178 offset:11424
	ds_load_b128 v[56:59], v178 offset:12240
	s_waitcnt vmcnt(5) lgkmcnt(7)
	v_mul_f64 v[60:61], v[30:31], v[6:7]
	v_mul_f64 v[62:63], v[28:29], v[6:7]
	s_waitcnt vmcnt(4) lgkmcnt(6)
	v_mul_f64 v[64:65], v[34:35], v[10:11]
	v_mul_f64 v[66:67], v[32:33], v[10:11]
	s_waitcnt lgkmcnt(5)
	v_mul_f64 v[68:69], v[38:39], v[6:7]
	v_mul_f64 v[6:7], v[36:37], v[6:7]
	s_waitcnt lgkmcnt(4)
	v_mul_f64 v[70:71], v[42:43], v[10:11]
	v_mul_f64 v[10:11], v[40:41], v[10:11]
	s_waitcnt vmcnt(3) lgkmcnt(3)
	v_mul_f64 v[78:79], v[46:47], v[14:15]
	v_mul_f64 v[14:15], v[44:45], v[14:15]
	s_waitcnt vmcnt(2) lgkmcnt(2)
	;; [unrolled: 3-line block ×4, first 2 shown]
	v_mul_f64 v[84:85], v[58:59], v[26:27]
	v_mul_f64 v[26:27], v[56:57], v[26:27]
	v_fma_f64 v[60:61], v[28:29], v[4:5], -v[60:61]
	v_fma_f64 v[62:63], v[30:31], v[4:5], v[62:63]
	v_fma_f64 v[64:65], v[32:33], v[8:9], -v[64:65]
	v_fma_f64 v[66:67], v[34:35], v[8:9], v[66:67]
	v_fma_f64 v[68:69], v[36:37], v[4:5], -v[68:69]
	v_fma_f64 v[86:87], v[38:39], v[4:5], v[6:7]
	v_fma_f64 v[70:71], v[40:41], v[8:9], -v[70:71]
	v_fma_f64 v[88:89], v[42:43], v[8:9], v[10:11]
	v_fma_f64 v[78:79], v[44:45], v[12:13], -v[78:79]
	v_fma_f64 v[90:91], v[46:47], v[12:13], v[14:15]
	v_fma_f64 v[80:81], v[48:49], v[16:17], -v[80:81]
	v_fma_f64 v[92:93], v[50:51], v[16:17], v[18:19]
	v_fma_f64 v[82:83], v[52:53], v[20:21], -v[82:83]
	v_fma_f64 v[94:95], v[54:55], v[20:21], v[22:23]
	v_fma_f64 v[84:85], v[56:57], v[24:25], -v[84:85]
	v_fma_f64 v[96:97], v[58:59], v[24:25], v[26:27]
	ds_load_b128 v[4:7], v178
	ds_load_b128 v[8:11], v178 offset:816
	ds_load_b128 v[12:15], v178 offset:1632
	ds_load_b128 v[16:19], v178 offset:2448
	ds_load_b128 v[20:23], v178 offset:3264
	ds_load_b128 v[24:27], v178 offset:4080
	ds_load_b128 v[28:31], v178 offset:4896
	ds_load_b128 v[32:35], v178 offset:5712
	s_waitcnt lgkmcnt(0)
	s_barrier
	buffer_gl0_inv
	v_add_f64 v[36:37], v[4:5], -v[60:61]
	v_add_f64 v[38:39], v[6:7], -v[62:63]
	v_add_f64 v[40:41], v[8:9], -v[64:65]
	v_add_f64 v[42:43], v[10:11], -v[66:67]
	v_add_f64 v[44:45], v[12:13], -v[68:69]
	v_add_f64 v[46:47], v[14:15], -v[86:87]
	v_add_f64 v[48:49], v[16:17], -v[70:71]
	v_add_f64 v[50:51], v[18:19], -v[88:89]
	v_add_f64 v[52:53], v[20:21], -v[78:79]
	v_add_f64 v[54:55], v[22:23], -v[90:91]
	v_add_f64 v[56:57], v[24:25], -v[80:81]
	v_add_f64 v[58:59], v[26:27], -v[92:93]
	v_add_f64 v[60:61], v[28:29], -v[82:83]
	v_add_f64 v[62:63], v[30:31], -v[94:95]
	v_add_f64 v[64:65], v[32:33], -v[84:85]
	v_add_f64 v[66:67], v[34:35], -v[96:97]
	v_add_nc_u32_e32 v78, 0, v100
	v_fma_f64 v[68:69], v[4:5], 2.0, -v[36:37]
	v_fma_f64 v[70:71], v[6:7], 2.0, -v[38:39]
	;; [unrolled: 1-line block ×16, first 2 shown]
	v_add_co_u32 v4, s0, 0x1000, v0
	s_delay_alu instid0(VALU_DEP_1)
	v_add_co_ci_u32_e64 v5, s0, 0, v1, s0
	v_add_nc_u32_e32 v34, 0, v75
	v_add_nc_u32_e32 v35, 0, v98
	;; [unrolled: 1-line block ×3, first 2 shown]
	ds_store_b128 v178, v[36:39] offset:1632
	ds_store_b128 v178, v[40:43] offset:2448
	;; [unrolled: 1-line block ×4, first 2 shown]
	ds_store_b128 v178, v[68:71]
	ds_store_b128 v178, v[6:9] offset:816
	ds_store_b128 v178, v[10:13] offset:3264
	;; [unrolled: 1-line block ×11, first 2 shown]
	s_waitcnt lgkmcnt(0)
	s_barrier
	buffer_gl0_inv
	s_clause 0x3
	global_load_b128 v[6:9], v[2:3], off offset:2992
	global_load_b128 v[10:13], v[0:1], off offset:3808
	;; [unrolled: 1-line block ×4, first 2 shown]
	ds_load_b128 v[22:25], v178 offset:6528
	ds_load_b128 v[26:29], v178 offset:7344
	ds_load_b128 v[30:33], v178 offset:8160
	ds_load_b128 v[34:37], v178 offset:8976
	ds_load_b128 v[38:41], v178 offset:9792
	ds_load_b128 v[42:45], v178 offset:10608
	ds_load_b128 v[46:49], v178 offset:11424
	ds_load_b128 v[50:53], v178 offset:12240
	v_add_co_u32 v2, s0, 0x1000, v2
	s_delay_alu instid0(VALU_DEP_1)
	v_add_co_ci_u32_e64 v3, s0, 0, v3, s0
	s_waitcnt vmcnt(3) lgkmcnt(7)
	v_mul_f64 v[54:55], v[24:25], v[8:9]
	v_mul_f64 v[56:57], v[22:23], v[8:9]
	s_waitcnt vmcnt(2) lgkmcnt(6)
	v_mul_f64 v[58:59], v[28:29], v[12:13]
	v_mul_f64 v[60:61], v[26:27], v[12:13]
	;; [unrolled: 3-line block ×4, first 2 shown]
	s_waitcnt lgkmcnt(3)
	v_mul_f64 v[70:71], v[40:41], v[8:9]
	v_mul_f64 v[8:9], v[38:39], v[8:9]
	s_waitcnt lgkmcnt(2)
	v_mul_f64 v[78:79], v[44:45], v[12:13]
	v_mul_f64 v[12:13], v[42:43], v[12:13]
	;; [unrolled: 3-line block ×4, first 2 shown]
	v_fma_f64 v[54:55], v[22:23], v[6:7], -v[54:55]
	v_fma_f64 v[56:57], v[24:25], v[6:7], v[56:57]
	v_fma_f64 v[58:59], v[26:27], v[10:11], -v[58:59]
	v_fma_f64 v[60:61], v[28:29], v[10:11], v[60:61]
	;; [unrolled: 2-line block ×8, first 2 shown]
	ds_load_b128 v[6:9], v178
	ds_load_b128 v[10:13], v178 offset:816
	ds_load_b128 v[14:17], v178 offset:1632
	;; [unrolled: 1-line block ×7, first 2 shown]
	s_waitcnt lgkmcnt(0)
	s_barrier
	buffer_gl0_inv
	v_add_f64 v[38:39], v[6:7], -v[54:55]
	v_add_f64 v[40:41], v[8:9], -v[56:57]
	;; [unrolled: 1-line block ×16, first 2 shown]
	v_fma_f64 v[6:7], v[6:7], 2.0, -v[38:39]
	v_fma_f64 v[8:9], v[8:9], 2.0, -v[40:41]
	;; [unrolled: 1-line block ×16, first 2 shown]
	ds_store_b128 v178, v[38:41] offset:3264
	ds_store_b128 v178, v[42:45] offset:4080
	;; [unrolled: 1-line block ×8, first 2 shown]
	ds_store_b128 v178, v[6:9]
	ds_store_b128 v178, v[10:13] offset:816
	ds_store_b128 v178, v[14:17] offset:1632
	;; [unrolled: 1-line block ×7, first 2 shown]
	s_waitcnt lgkmcnt(0)
	s_barrier
	buffer_gl0_inv
	global_load_b128 v[6:9], v[2:3], off offset:2160
	v_add_co_u32 v30, s0, 0x2000, v0
	s_delay_alu instid0(VALU_DEP_1)
	v_add_co_ci_u32_e64 v31, s0, 0, v1, s0
	s_clause 0x6
	global_load_b128 v[0:3], v[4:5], off offset:2976
	global_load_b128 v[10:13], v[4:5], off offset:3792
	;; [unrolled: 1-line block ×7, first 2 shown]
	ds_load_b128 v[34:37], v178 offset:6528
	ds_load_b128 v[38:41], v178 offset:7344
	;; [unrolled: 1-line block ×8, first 2 shown]
	s_waitcnt vmcnt(6) lgkmcnt(6)
	v_mul_f64 v[66:67], v[40:41], v[2:3]
	v_mul_f64 v[4:5], v[36:37], v[8:9]
	;; [unrolled: 1-line block ×4, first 2 shown]
	s_waitcnt vmcnt(5) lgkmcnt(5)
	v_mul_f64 v[68:69], v[44:45], v[12:13]
	v_mul_f64 v[12:13], v[42:43], v[12:13]
	s_waitcnt vmcnt(4) lgkmcnt(4)
	v_mul_f64 v[70:71], v[48:49], v[16:17]
	v_mul_f64 v[16:17], v[46:47], v[16:17]
	;; [unrolled: 3-line block ×6, first 2 shown]
	v_fma_f64 v[38:39], v[38:39], v[0:1], -v[66:67]
	v_fma_f64 v[34:35], v[34:35], v[6:7], -v[4:5]
	v_fma_f64 v[36:37], v[36:37], v[6:7], v[8:9]
	v_fma_f64 v[40:41], v[40:41], v[0:1], v[2:3]
	v_fma_f64 v[42:43], v[42:43], v[10:11], -v[68:69]
	v_fma_f64 v[44:45], v[44:45], v[10:11], v[12:13]
	v_fma_f64 v[46:47], v[46:47], v[14:15], -v[70:71]
	v_fma_f64 v[48:49], v[48:49], v[14:15], v[16:17]
	v_fma_f64 v[50:51], v[50:51], v[18:19], -v[78:79]
	v_fma_f64 v[52:53], v[52:53], v[18:19], v[20:21]
	v_fma_f64 v[54:55], v[54:55], v[22:23], -v[80:81]
	v_fma_f64 v[56:57], v[56:57], v[22:23], v[24:25]
	v_fma_f64 v[58:59], v[58:59], v[26:27], -v[82:83]
	v_fma_f64 v[60:61], v[60:61], v[26:27], v[28:29]
	v_fma_f64 v[62:63], v[62:63], v[30:31], -v[84:85]
	v_fma_f64 v[64:65], v[64:65], v[30:31], v[32:33]
	ds_load_b128 v[0:3], v178
	ds_load_b128 v[4:7], v178 offset:816
	ds_load_b128 v[8:11], v178 offset:1632
	;; [unrolled: 1-line block ×7, first 2 shown]
	s_waitcnt lgkmcnt(0)
	s_barrier
	buffer_gl0_inv
	v_add_f64 v[32:33], v[0:1], -v[34:35]
	v_add_f64 v[34:35], v[2:3], -v[36:37]
	v_add_f64 v[36:37], v[4:5], -v[38:39]
	v_add_f64 v[38:39], v[6:7], -v[40:41]
	v_add_f64 v[40:41], v[8:9], -v[42:43]
	v_add_f64 v[42:43], v[10:11], -v[44:45]
	v_add_f64 v[44:45], v[12:13], -v[46:47]
	v_add_f64 v[46:47], v[14:15], -v[48:49]
	v_add_f64 v[48:49], v[16:17], -v[50:51]
	v_add_f64 v[50:51], v[18:19], -v[52:53]
	v_add_f64 v[52:53], v[20:21], -v[54:55]
	v_add_f64 v[54:55], v[22:23], -v[56:57]
	v_add_f64 v[56:57], v[24:25], -v[58:59]
	v_add_f64 v[58:59], v[26:27], -v[60:61]
	v_add_f64 v[60:61], v[28:29], -v[62:63]
	v_add_f64 v[62:63], v[30:31], -v[64:65]
	v_fma_f64 v[0:1], v[0:1], 2.0, -v[32:33]
	v_fma_f64 v[2:3], v[2:3], 2.0, -v[34:35]
	;; [unrolled: 1-line block ×16, first 2 shown]
	ds_store_b128 v178, v[32:35] offset:6528
	ds_store_b128 v178, v[36:39] offset:7344
	;; [unrolled: 1-line block ×8, first 2 shown]
	ds_store_b128 v178, v[0:3]
	ds_store_b128 v178, v[4:7] offset:816
	ds_store_b128 v178, v[8:11] offset:1632
	;; [unrolled: 1-line block ×7, first 2 shown]
	s_waitcnt lgkmcnt(0)
	s_barrier
	buffer_gl0_inv
	s_and_saveexec_b32 s0, vcc_lo
	s_cbranch_execz .LBB0_27
; %bb.26:
	v_mul_lo_u32 v2, s3, v76
	v_mul_lo_u32 v3, s2, v77
	v_mad_u64_u32 v[0:1], null, s2, v76, 0
	v_lshl_add_u32 v34, v74, 4, 0
	v_dual_mov_b32 v75, 0 :: v_dual_add_nc_u32 v12, 51, v74
	v_lshlrev_b64 v[8:9], 4, v[72:73]
	v_add_nc_u32_e32 v22, 0xff, v74
	s_delay_alu instid0(VALU_DEP_3) | instskip(SKIP_4) | instid1(VALU_DEP_4)
	v_dual_mov_b32 v25, v75 :: v_dual_add_nc_u32 v24, 0x132, v74
	v_add3_u32 v1, v1, v3, v2
	v_mov_b32_e32 v13, v75
	v_lshlrev_b64 v[14:15], 4, v[74:75]
	v_mov_b32_e32 v23, v75
	v_lshlrev_b64 v[10:11], 4, v[0:1]
	ds_load_b128 v[0:3], v34
	ds_load_b128 v[4:7], v34 offset:816
	v_lshlrev_b64 v[22:23], 4, v[22:23]
	v_add_co_u32 v10, vcc_lo, s6, v10
	v_add_co_ci_u32_e32 v11, vcc_lo, s7, v11, vcc_lo
	s_delay_alu instid0(VALU_DEP_2) | instskip(NEXT) | instid1(VALU_DEP_2)
	v_add_co_u32 v36, vcc_lo, v10, v8
	v_add_co_ci_u32_e32 v37, vcc_lo, v11, v9, vcc_lo
	v_lshlrev_b64 v[8:9], 4, v[12:13]
	v_add_nc_u32_e32 v12, 0x66, v74
	s_delay_alu instid0(VALU_DEP_4) | instskip(NEXT) | instid1(VALU_DEP_4)
	v_add_co_u32 v10, vcc_lo, v36, v14
	v_add_co_ci_u32_e32 v11, vcc_lo, v37, v15, vcc_lo
	s_delay_alu instid0(VALU_DEP_4)
	v_add_co_u32 v8, vcc_lo, v36, v8
	v_add_co_ci_u32_e32 v9, vcc_lo, v37, v9, vcc_lo
	s_waitcnt lgkmcnt(1)
	global_store_b128 v[10:11], v[0:3], off
	s_waitcnt lgkmcnt(0)
	global_store_b128 v[8:9], v[4:7], off
	v_lshlrev_b64 v[0:1], 4, v[12:13]
	v_dual_mov_b32 v9, v75 :: v_dual_add_nc_u32 v8, 0x99, v74
	v_dual_mov_b32 v11, v75 :: v_dual_add_nc_u32 v10, 0xcc, v74
	s_delay_alu instid0(VALU_DEP_3) | instskip(NEXT) | instid1(VALU_DEP_4)
	v_add_co_u32 v16, vcc_lo, v36, v0
	v_add_co_ci_u32_e32 v17, vcc_lo, v37, v1, vcc_lo
	ds_load_b128 v[0:3], v34 offset:1632
	ds_load_b128 v[4:7], v34 offset:2448
	v_lshlrev_b64 v[18:19], 4, v[8:9]
	v_lshlrev_b64 v[20:21], 4, v[10:11]
	ds_load_b128 v[8:11], v34 offset:3264
	ds_load_b128 v[12:15], v34 offset:4080
	v_add_co_u32 v18, vcc_lo, v36, v18
	v_add_co_ci_u32_e32 v19, vcc_lo, v37, v19, vcc_lo
	v_add_co_u32 v20, vcc_lo, v36, v20
	v_add_co_ci_u32_e32 v21, vcc_lo, v37, v21, vcc_lo
	;; [unrolled: 2-line block ×3, first 2 shown]
	s_waitcnt lgkmcnt(3)
	global_store_b128 v[16:17], v[0:3], off
	s_waitcnt lgkmcnt(2)
	global_store_b128 v[18:19], v[4:7], off
	;; [unrolled: 2-line block ×4, first 2 shown]
	v_lshlrev_b64 v[0:1], 4, v[24:25]
	v_dual_mov_b32 v9, v75 :: v_dual_add_nc_u32 v8, 0x165, v74
	v_dual_mov_b32 v11, v75 :: v_dual_add_nc_u32 v10, 0x198, v74
	;; [unrolled: 1-line block ×3, first 2 shown]
	s_delay_alu instid0(VALU_DEP_4)
	v_add_co_u32 v16, vcc_lo, v36, v0
	v_add_co_ci_u32_e32 v17, vcc_lo, v37, v1, vcc_lo
	ds_load_b128 v[0:3], v34 offset:4896
	ds_load_b128 v[4:7], v34 offset:5712
	v_lshlrev_b64 v[18:19], 4, v[8:9]
	v_lshlrev_b64 v[20:21], 4, v[10:11]
	ds_load_b128 v[8:11], v34 offset:6528
	ds_load_b128 v[12:15], v34 offset:7344
	v_lshlrev_b64 v[22:23], 4, v[22:23]
	v_add_nc_u32_e32 v24, 0x1fe, v74
	v_add_co_u32 v18, vcc_lo, v36, v18
	v_add_co_ci_u32_e32 v19, vcc_lo, v37, v19, vcc_lo
	v_add_co_u32 v20, vcc_lo, v36, v20
	v_add_co_ci_u32_e32 v21, vcc_lo, v37, v21, vcc_lo
	v_add_co_u32 v22, vcc_lo, v36, v22
	s_waitcnt lgkmcnt(3)
	global_store_b128 v[16:17], v[0:3], off
	s_waitcnt lgkmcnt(2)
	global_store_b128 v[18:19], v[4:7], off
	v_dual_mov_b32 v3, v75 :: v_dual_add_nc_u32 v2, 0x231, v74
	v_add_co_ci_u32_e32 v23, vcc_lo, v37, v23, vcc_lo
	v_lshlrev_b64 v[0:1], 4, v[24:25]
	s_waitcnt lgkmcnt(1)
	global_store_b128 v[20:21], v[8:11], off
	s_waitcnt lgkmcnt(0)
	global_store_b128 v[22:23], v[12:15], off
	v_mov_b32_e32 v11, v75
	v_lshlrev_b64 v[8:9], 4, v[2:3]
	v_dual_mov_b32 v17, v75 :: v_dual_add_nc_u32 v10, 0x264, v74
	v_add_co_u32 v24, vcc_lo, v36, v0
	v_add_co_ci_u32_e32 v25, vcc_lo, v37, v1, vcc_lo
	s_delay_alu instid0(VALU_DEP_4)
	v_add_co_u32 v26, vcc_lo, v36, v8
	v_add_co_ci_u32_e32 v27, vcc_lo, v37, v9, vcc_lo
	v_lshlrev_b64 v[8:9], 4, v[10:11]
	v_dual_mov_b32 v19, v75 :: v_dual_add_nc_u32 v16, 0x297, v74
	v_add_nc_u32_e32 v18, 0x2ca, v74
	ds_load_b128 v[0:3], v34 offset:8160
	ds_load_b128 v[4:7], v34 offset:8976
	v_add_nc_u32_e32 v74, 0x2fd, v74
	v_add_co_u32 v28, vcc_lo, v36, v8
	v_add_co_ci_u32_e32 v29, vcc_lo, v37, v9, vcc_lo
	ds_load_b128 v[8:11], v34 offset:9792
	ds_load_b128 v[12:15], v34 offset:10608
	v_lshlrev_b64 v[30:31], 4, v[16:17]
	v_lshlrev_b64 v[32:33], 4, v[18:19]
	ds_load_b128 v[16:19], v34 offset:11424
	ds_load_b128 v[20:23], v34 offset:12240
	v_lshlrev_b64 v[34:35], 4, v[74:75]
	v_add_co_u32 v30, vcc_lo, v36, v30
	v_add_co_ci_u32_e32 v31, vcc_lo, v37, v31, vcc_lo
	v_add_co_u32 v32, vcc_lo, v36, v32
	v_add_co_ci_u32_e32 v33, vcc_lo, v37, v33, vcc_lo
	;; [unrolled: 2-line block ×3, first 2 shown]
	s_waitcnt lgkmcnt(5)
	global_store_b128 v[24:25], v[0:3], off
	s_waitcnt lgkmcnt(4)
	global_store_b128 v[26:27], v[4:7], off
	;; [unrolled: 2-line block ×6, first 2 shown]
.LBB0_27:
	s_nop 0
	s_sendmsg sendmsg(MSG_DEALLOC_VGPRS)
	s_endpgm
	.section	.rodata,"a",@progbits
	.p2align	6, 0x0
	.amdhsa_kernel fft_rtc_fwd_len816_factors_17_2_3_2_2_2_wgs_51_tpt_51_halfLds_dp_op_CI_CI_unitstride_sbrr_C2R_dirReg
		.amdhsa_group_segment_fixed_size 0
		.amdhsa_private_segment_fixed_size 0
		.amdhsa_kernarg_size 104
		.amdhsa_user_sgpr_count 15
		.amdhsa_user_sgpr_dispatch_ptr 0
		.amdhsa_user_sgpr_queue_ptr 0
		.amdhsa_user_sgpr_kernarg_segment_ptr 1
		.amdhsa_user_sgpr_dispatch_id 0
		.amdhsa_user_sgpr_private_segment_size 0
		.amdhsa_wavefront_size32 1
		.amdhsa_uses_dynamic_stack 0
		.amdhsa_enable_private_segment 0
		.amdhsa_system_sgpr_workgroup_id_x 1
		.amdhsa_system_sgpr_workgroup_id_y 0
		.amdhsa_system_sgpr_workgroup_id_z 0
		.amdhsa_system_sgpr_workgroup_info 0
		.amdhsa_system_vgpr_workitem_id 0
		.amdhsa_next_free_vgpr 255
		.amdhsa_next_free_sgpr 56
		.amdhsa_reserve_vcc 1
		.amdhsa_float_round_mode_32 0
		.amdhsa_float_round_mode_16_64 0
		.amdhsa_float_denorm_mode_32 3
		.amdhsa_float_denorm_mode_16_64 3
		.amdhsa_dx10_clamp 1
		.amdhsa_ieee_mode 1
		.amdhsa_fp16_overflow 0
		.amdhsa_workgroup_processor_mode 1
		.amdhsa_memory_ordered 1
		.amdhsa_forward_progress 0
		.amdhsa_shared_vgpr_count 0
		.amdhsa_exception_fp_ieee_invalid_op 0
		.amdhsa_exception_fp_denorm_src 0
		.amdhsa_exception_fp_ieee_div_zero 0
		.amdhsa_exception_fp_ieee_overflow 0
		.amdhsa_exception_fp_ieee_underflow 0
		.amdhsa_exception_fp_ieee_inexact 0
		.amdhsa_exception_int_div_zero 0
	.end_amdhsa_kernel
	.text
.Lfunc_end0:
	.size	fft_rtc_fwd_len816_factors_17_2_3_2_2_2_wgs_51_tpt_51_halfLds_dp_op_CI_CI_unitstride_sbrr_C2R_dirReg, .Lfunc_end0-fft_rtc_fwd_len816_factors_17_2_3_2_2_2_wgs_51_tpt_51_halfLds_dp_op_CI_CI_unitstride_sbrr_C2R_dirReg
                                        ; -- End function
	.section	.AMDGPU.csdata,"",@progbits
; Kernel info:
; codeLenInByte = 17832
; NumSgprs: 58
; NumVgprs: 255
; ScratchSize: 0
; MemoryBound: 0
; FloatMode: 240
; IeeeMode: 1
; LDSByteSize: 0 bytes/workgroup (compile time only)
; SGPRBlocks: 7
; VGPRBlocks: 31
; NumSGPRsForWavesPerEU: 58
; NumVGPRsForWavesPerEU: 255
; Occupancy: 5
; WaveLimiterHint : 1
; COMPUTE_PGM_RSRC2:SCRATCH_EN: 0
; COMPUTE_PGM_RSRC2:USER_SGPR: 15
; COMPUTE_PGM_RSRC2:TRAP_HANDLER: 0
; COMPUTE_PGM_RSRC2:TGID_X_EN: 1
; COMPUTE_PGM_RSRC2:TGID_Y_EN: 0
; COMPUTE_PGM_RSRC2:TGID_Z_EN: 0
; COMPUTE_PGM_RSRC2:TIDIG_COMP_CNT: 0
	.text
	.p2alignl 7, 3214868480
	.fill 96, 4, 3214868480
	.type	__hip_cuid_8e72f43ada476697,@object ; @__hip_cuid_8e72f43ada476697
	.section	.bss,"aw",@nobits
	.globl	__hip_cuid_8e72f43ada476697
__hip_cuid_8e72f43ada476697:
	.byte	0                               ; 0x0
	.size	__hip_cuid_8e72f43ada476697, 1

	.ident	"AMD clang version 19.0.0git (https://github.com/RadeonOpenCompute/llvm-project roc-6.4.0 25133 c7fe45cf4b819c5991fe208aaa96edf142730f1d)"
	.section	".note.GNU-stack","",@progbits
	.addrsig
	.addrsig_sym __hip_cuid_8e72f43ada476697
	.amdgpu_metadata
---
amdhsa.kernels:
  - .args:
      - .actual_access:  read_only
        .address_space:  global
        .offset:         0
        .size:           8
        .value_kind:     global_buffer
      - .offset:         8
        .size:           8
        .value_kind:     by_value
      - .actual_access:  read_only
        .address_space:  global
        .offset:         16
        .size:           8
        .value_kind:     global_buffer
      - .actual_access:  read_only
        .address_space:  global
        .offset:         24
        .size:           8
        .value_kind:     global_buffer
      - .actual_access:  read_only
        .address_space:  global
        .offset:         32
        .size:           8
        .value_kind:     global_buffer
      - .offset:         40
        .size:           8
        .value_kind:     by_value
      - .actual_access:  read_only
        .address_space:  global
        .offset:         48
        .size:           8
        .value_kind:     global_buffer
      - .actual_access:  read_only
        .address_space:  global
        .offset:         56
        .size:           8
        .value_kind:     global_buffer
      - .offset:         64
        .size:           4
        .value_kind:     by_value
      - .actual_access:  read_only
        .address_space:  global
        .offset:         72
        .size:           8
        .value_kind:     global_buffer
      - .actual_access:  read_only
        .address_space:  global
        .offset:         80
        .size:           8
        .value_kind:     global_buffer
      - .actual_access:  read_only
        .address_space:  global
        .offset:         88
        .size:           8
        .value_kind:     global_buffer
      - .actual_access:  write_only
        .address_space:  global
        .offset:         96
        .size:           8
        .value_kind:     global_buffer
    .group_segment_fixed_size: 0
    .kernarg_segment_align: 8
    .kernarg_segment_size: 104
    .language:       OpenCL C
    .language_version:
      - 2
      - 0
    .max_flat_workgroup_size: 51
    .name:           fft_rtc_fwd_len816_factors_17_2_3_2_2_2_wgs_51_tpt_51_halfLds_dp_op_CI_CI_unitstride_sbrr_C2R_dirReg
    .private_segment_fixed_size: 0
    .sgpr_count:     58
    .sgpr_spill_count: 0
    .symbol:         fft_rtc_fwd_len816_factors_17_2_3_2_2_2_wgs_51_tpt_51_halfLds_dp_op_CI_CI_unitstride_sbrr_C2R_dirReg.kd
    .uniform_work_group_size: 1
    .uses_dynamic_stack: false
    .vgpr_count:     255
    .vgpr_spill_count: 0
    .wavefront_size: 32
    .workgroup_processor_mode: 1
amdhsa.target:   amdgcn-amd-amdhsa--gfx1100
amdhsa.version:
  - 1
  - 2
...

	.end_amdgpu_metadata
